;; amdgpu-corpus repo=zjin-lcf/HeCBench kind=compiled arch=gfx1250 opt=O3
	.amdgcn_target "amdgcn-amd-amdhsa--gfx1250"
	.amdhsa_code_object_version 6
	.text
	.protected	_Z17initialize_bufferPffi ; -- Begin function _Z17initialize_bufferPffi
	.globl	_Z17initialize_bufferPffi
	.p2align	8
	.type	_Z17initialize_bufferPffi,@function
_Z17initialize_bufferPffi:              ; @_Z17initialize_bufferPffi
; %bb.0:
	s_clause 0x1
	s_load_b32 s4, s[0:1], 0x1c
	s_load_b64 s[2:3], s[0:1], 0x8
	s_bfe_u32 s5, ttmp6, 0x4000c
	s_and_b32 s6, ttmp6, 15
	s_add_co_i32 s5, s5, 1
	s_getreg_b32 s7, hwreg(HW_REG_IB_STS2, 6, 4)
	s_mul_i32 s5, ttmp9, s5
	s_delay_alu instid0(SALU_CYCLE_1) | instskip(SKIP_4) | instid1(SALU_CYCLE_1)
	s_add_co_i32 s6, s6, s5
	s_wait_kmcnt 0x0
	s_and_b32 s4, s4, 0xffff
	s_cmp_eq_u32 s7, 0
	s_cselect_b32 s5, ttmp9, s6
	v_mad_u32 v0, s5, s4, v0
	s_delay_alu instid0(VALU_DEP_1)
	v_cmp_gt_i32_e32 vcc_lo, s3, v0
	s_and_saveexec_b32 s3, vcc_lo
	s_cbranch_execz .LBB0_2
; %bb.1:
	s_load_b64 s[0:1], s[0:1], 0x0
	v_mov_b32_e32 v1, s2
	s_wait_kmcnt 0x0
	global_store_b32 v0, v1, s[0:1] scale_offset
.LBB0_2:
	s_endpgm
	.section	.rodata,"a",@progbits
	.p2align	6, 0x0
	.amdhsa_kernel _Z17initialize_bufferPffi
		.amdhsa_group_segment_fixed_size 0
		.amdhsa_private_segment_fixed_size 0
		.amdhsa_kernarg_size 272
		.amdhsa_user_sgpr_count 2
		.amdhsa_user_sgpr_dispatch_ptr 0
		.amdhsa_user_sgpr_queue_ptr 0
		.amdhsa_user_sgpr_kernarg_segment_ptr 1
		.amdhsa_user_sgpr_dispatch_id 0
		.amdhsa_user_sgpr_kernarg_preload_length 0
		.amdhsa_user_sgpr_kernarg_preload_offset 0
		.amdhsa_user_sgpr_private_segment_size 0
		.amdhsa_wavefront_size32 1
		.amdhsa_uses_dynamic_stack 0
		.amdhsa_enable_private_segment 0
		.amdhsa_system_sgpr_workgroup_id_x 1
		.amdhsa_system_sgpr_workgroup_id_y 0
		.amdhsa_system_sgpr_workgroup_id_z 0
		.amdhsa_system_sgpr_workgroup_info 0
		.amdhsa_system_vgpr_workitem_id 0
		.amdhsa_next_free_vgpr 2
		.amdhsa_next_free_sgpr 8
		.amdhsa_named_barrier_count 0
		.amdhsa_reserve_vcc 1
		.amdhsa_float_round_mode_32 0
		.amdhsa_float_round_mode_16_64 0
		.amdhsa_float_denorm_mode_32 3
		.amdhsa_float_denorm_mode_16_64 3
		.amdhsa_fp16_overflow 0
		.amdhsa_memory_ordered 1
		.amdhsa_forward_progress 1
		.amdhsa_inst_pref_size 1
		.amdhsa_round_robin_scheduling 0
		.amdhsa_exception_fp_ieee_invalid_op 0
		.amdhsa_exception_fp_denorm_src 0
		.amdhsa_exception_fp_ieee_div_zero 0
		.amdhsa_exception_fp_ieee_overflow 0
		.amdhsa_exception_fp_ieee_underflow 0
		.amdhsa_exception_fp_ieee_inexact 0
		.amdhsa_exception_int_div_zero 0
	.end_amdhsa_kernel
	.text
.Lfunc_end0:
	.size	_Z17initialize_bufferPffi, .Lfunc_end0-_Z17initialize_bufferPffi
                                        ; -- End function
	.set _Z17initialize_bufferPffi.num_vgpr, 2
	.set _Z17initialize_bufferPffi.num_agpr, 0
	.set _Z17initialize_bufferPffi.numbered_sgpr, 8
	.set _Z17initialize_bufferPffi.num_named_barrier, 0
	.set _Z17initialize_bufferPffi.private_seg_size, 0
	.set _Z17initialize_bufferPffi.uses_vcc, 1
	.set _Z17initialize_bufferPffi.uses_flat_scratch, 0
	.set _Z17initialize_bufferPffi.has_dyn_sized_stack, 0
	.set _Z17initialize_bufferPffi.has_recursion, 0
	.set _Z17initialize_bufferPffi.has_indirect_call, 0
	.section	.AMDGPU.csdata,"",@progbits
; Kernel info:
; codeLenInByte = 128
; TotalNumSgprs: 10
; NumVgprs: 2
; ScratchSize: 0
; MemoryBound: 0
; FloatMode: 240
; IeeeMode: 1
; LDSByteSize: 0 bytes/workgroup (compile time only)
; SGPRBlocks: 0
; VGPRBlocks: 0
; NumSGPRsForWavesPerEU: 10
; NumVGPRsForWavesPerEU: 2
; NamedBarCnt: 0
; Occupancy: 16
; WaveLimiterHint : 0
; COMPUTE_PGM_RSRC2:SCRATCH_EN: 0
; COMPUTE_PGM_RSRC2:USER_SGPR: 2
; COMPUTE_PGM_RSRC2:TRAP_HANDLER: 0
; COMPUTE_PGM_RSRC2:TGID_X_EN: 1
; COMPUTE_PGM_RSRC2:TGID_Y_EN: 0
; COMPUTE_PGM_RSRC2:TGID_Z_EN: 0
; COMPUTE_PGM_RSRC2:TIDIG_COMP_CNT: 0
	.text
	.protected	_Z20initialize_variablesiPfPKf ; -- Begin function _Z20initialize_variablesiPfPKf
	.globl	_Z20initialize_variablesiPfPKf
	.p2align	8
	.type	_Z20initialize_variablesiPfPKf,@function
_Z20initialize_variablesiPfPKf:         ; @_Z20initialize_variablesiPfPKf
; %bb.0:
	s_clause 0x2
	s_load_b128 s[4:7], s[0:1], 0x8
	s_load_b32 s2, s[0:1], 0x0
	s_load_b32 s8, s[0:1], 0x24
	s_wait_xcnt 0x0
	s_bfe_u32 s1, ttmp6, 0x4000c
	s_and_b32 s9, ttmp6, 15
	s_add_co_i32 s1, s1, 1
	s_getreg_b32 s10, hwreg(HW_REG_IB_STS2, 6, 4)
	s_mul_i32 s1, ttmp9, s1
	v_mov_b32_e32 v4, 0
	s_add_co_i32 s9, s9, s1
	s_wait_kmcnt 0x0
	s_load_b32 s0, s[6:7], 0x0
	s_ashr_i32 s3, s2, 31
	s_and_b32 s8, s8, 0xffff
	s_cmp_eq_u32 s10, 0
	s_cselect_b32 s1, ttmp9, s9
	s_delay_alu instid0(SALU_CYCLE_1)
	v_mad_u32 v0, s1, s8, v0
	s_wait_kmcnt 0x0
	v_mov_b32_e32 v1, s0
	global_store_b32 v0, v1, s[4:5] scale_offset
	global_load_b32 v5, v4, s[6:7] offset:4
	s_wait_xcnt 0x1
	v_ashrrev_i32_e32 v1, 31, v0
	s_delay_alu instid0(VALU_DEP_1) | instskip(SKIP_1) | instid1(VALU_DEP_2)
	v_lshl_add_u64 v[2:3], v[0:1], 2, s[4:5]
	v_add3_u32 v0, s2, s2, v0
	v_lshl_add_u64 v[2:3], s[2:3], 2, v[2:3]
	s_wait_loadcnt 0x0
	global_store_b32 v[2:3], v5, off
	global_load_b32 v1, v4, s[6:7] offset:8
	s_wait_loadcnt 0x0
	global_store_b32 v0, v1, s[4:5] scale_offset
	global_load_b32 v1, v4, s[6:7] offset:12
	v_add_nc_u32_e32 v0, s2, v0
	s_wait_loadcnt 0x0
	global_store_b32 v0, v1, s[4:5] scale_offset
	global_load_b32 v1, v4, s[6:7] offset:16
	v_add_nc_u32_e32 v0, s2, v0
	s_wait_loadcnt 0x0
	global_store_b32 v0, v1, s[4:5] scale_offset
	s_endpgm
	.section	.rodata,"a",@progbits
	.p2align	6, 0x0
	.amdhsa_kernel _Z20initialize_variablesiPfPKf
		.amdhsa_group_segment_fixed_size 0
		.amdhsa_private_segment_fixed_size 0
		.amdhsa_kernarg_size 280
		.amdhsa_user_sgpr_count 2
		.amdhsa_user_sgpr_dispatch_ptr 0
		.amdhsa_user_sgpr_queue_ptr 0
		.amdhsa_user_sgpr_kernarg_segment_ptr 1
		.amdhsa_user_sgpr_dispatch_id 0
		.amdhsa_user_sgpr_kernarg_preload_length 0
		.amdhsa_user_sgpr_kernarg_preload_offset 0
		.amdhsa_user_sgpr_private_segment_size 0
		.amdhsa_wavefront_size32 1
		.amdhsa_uses_dynamic_stack 0
		.amdhsa_enable_private_segment 0
		.amdhsa_system_sgpr_workgroup_id_x 1
		.amdhsa_system_sgpr_workgroup_id_y 0
		.amdhsa_system_sgpr_workgroup_id_z 0
		.amdhsa_system_sgpr_workgroup_info 0
		.amdhsa_system_vgpr_workitem_id 0
		.amdhsa_next_free_vgpr 6
		.amdhsa_next_free_sgpr 11
		.amdhsa_named_barrier_count 0
		.amdhsa_reserve_vcc 0
		.amdhsa_float_round_mode_32 0
		.amdhsa_float_round_mode_16_64 0
		.amdhsa_float_denorm_mode_32 3
		.amdhsa_float_denorm_mode_16_64 3
		.amdhsa_fp16_overflow 0
		.amdhsa_memory_ordered 1
		.amdhsa_forward_progress 1
		.amdhsa_inst_pref_size 3
		.amdhsa_round_robin_scheduling 0
		.amdhsa_exception_fp_ieee_invalid_op 0
		.amdhsa_exception_fp_denorm_src 0
		.amdhsa_exception_fp_ieee_div_zero 0
		.amdhsa_exception_fp_ieee_overflow 0
		.amdhsa_exception_fp_ieee_underflow 0
		.amdhsa_exception_fp_ieee_inexact 0
		.amdhsa_exception_int_div_zero 0
	.end_amdhsa_kernel
	.text
.Lfunc_end1:
	.size	_Z20initialize_variablesiPfPKf, .Lfunc_end1-_Z20initialize_variablesiPfPKf
                                        ; -- End function
	.set _Z20initialize_variablesiPfPKf.num_vgpr, 6
	.set _Z20initialize_variablesiPfPKf.num_agpr, 0
	.set _Z20initialize_variablesiPfPKf.numbered_sgpr, 11
	.set _Z20initialize_variablesiPfPKf.num_named_barrier, 0
	.set _Z20initialize_variablesiPfPKf.private_seg_size, 0
	.set _Z20initialize_variablesiPfPKf.uses_vcc, 0
	.set _Z20initialize_variablesiPfPKf.uses_flat_scratch, 0
	.set _Z20initialize_variablesiPfPKf.has_dyn_sized_stack, 0
	.set _Z20initialize_variablesiPfPKf.has_recursion, 0
	.set _Z20initialize_variablesiPfPKf.has_indirect_call, 0
	.section	.AMDGPU.csdata,"",@progbits
; Kernel info:
; codeLenInByte = 288
; TotalNumSgprs: 11
; NumVgprs: 6
; ScratchSize: 0
; MemoryBound: 0
; FloatMode: 240
; IeeeMode: 1
; LDSByteSize: 0 bytes/workgroup (compile time only)
; SGPRBlocks: 0
; VGPRBlocks: 0
; NumSGPRsForWavesPerEU: 11
; NumVGPRsForWavesPerEU: 6
; NamedBarCnt: 0
; Occupancy: 16
; WaveLimiterHint : 0
; COMPUTE_PGM_RSRC2:SCRATCH_EN: 0
; COMPUTE_PGM_RSRC2:USER_SGPR: 2
; COMPUTE_PGM_RSRC2:TRAP_HANDLER: 0
; COMPUTE_PGM_RSRC2:TGID_X_EN: 1
; COMPUTE_PGM_RSRC2:TGID_Y_EN: 0
; COMPUTE_PGM_RSRC2:TGID_Z_EN: 0
; COMPUTE_PGM_RSRC2:TIDIG_COMP_CNT: 0
	.text
	.protected	_Z19compute_step_factoriPfS_S_ ; -- Begin function _Z19compute_step_factoriPfS_S_
	.globl	_Z19compute_step_factoriPfS_S_
	.p2align	8
	.type	_Z19compute_step_factoriPfS_S_,@function
_Z19compute_step_factoriPfS_S_:         ; @_Z19compute_step_factoriPfS_S_
; %bb.0:
	s_clause 0x1
	s_load_b32 s3, s[0:1], 0x2c
	s_load_b32 s2, s[0:1], 0x0
	s_bfe_u32 s4, ttmp6, 0x4000c
	s_and_b32 s5, ttmp6, 15
	s_add_co_i32 s4, s4, 1
	s_getreg_b32 s6, hwreg(HW_REG_IB_STS2, 6, 4)
	s_mul_i32 s4, ttmp9, s4
	s_delay_alu instid0(SALU_CYCLE_1) | instskip(SKIP_4) | instid1(SALU_CYCLE_1)
	s_add_co_i32 s5, s5, s4
	s_wait_kmcnt 0x0
	s_and_b32 s3, s3, 0xffff
	s_cmp_eq_u32 s6, 0
	s_cselect_b32 s4, ttmp9, s5
	v_mad_u32 v0, s4, s3, v0
	s_mov_b32 s3, exec_lo
	s_delay_alu instid0(VALU_DEP_1)
	v_cmpx_gt_i32_e64 s2, v0
	s_cbranch_execz .LBB2_2
; %bb.1:
	s_clause 0x1
	s_load_b128 s[4:7], s[0:1], 0x8
	s_load_b64 s[8:9], s[0:1], 0x18
	v_ashrrev_i32_e32 v1, 31, v0
	v_add3_u32 v4, s2, s2, v0
	s_ashr_i32 s3, s2, 31
	s_wait_kmcnt 0x0
	s_delay_alu instid0(VALU_DEP_2) | instskip(NEXT) | instid1(VALU_DEP_2)
	v_lshl_add_u64 v[2:3], v[0:1], 2, s[4:5]
	v_add_nc_u32_e32 v1, s2, v4
	global_load_b32 v5, v0, s[4:5] scale_offset
	v_lshl_add_u64 v[2:3], s[2:3], 2, v[2:3]
	s_clause 0x2
	global_load_b32 v6, v4, s[4:5] scale_offset
	global_load_b32 v7, v1, s[4:5] scale_offset
	global_load_b32 v8, v[2:3], off
	s_wait_loadcnt 0x2
	v_div_scale_f32 v13, vcc_lo, v6, v5, v6
	s_wait_loadcnt 0x1
	s_wait_xcnt 0x0
	v_div_scale_f32 v2, null, v5, v5, v7
	s_wait_loadcnt 0x0
	v_div_scale_f32 v3, null, v5, v5, v8
	v_div_scale_f32 v14, s0, v7, v5, v7
	s_delay_alu instid0(VALU_DEP_3) | instskip(NEXT) | instid1(VALU_DEP_2)
	v_rcp_f32_e32 v11, v2
	v_rcp_f32_e32 v12, v3
	v_div_scale_f32 v18, s1, v8, v5, v8
	s_delay_alu instid0(TRANS32_DEP_2) | instskip(NEXT) | instid1(TRANS32_DEP_1)
	v_fma_f32 v16, -v2, v11, 1.0
	v_fma_f32 v17, -v3, v12, 1.0
	s_delay_alu instid0(VALU_DEP_2) | instskip(NEXT) | instid1(VALU_DEP_2)
	v_dual_fmac_f32 v11, v16, v11 :: v_dual_add_nc_u32 v1, s2, v1
	v_fmac_f32_e32 v12, v17, v12
	global_load_b32 v4, v1, s[4:5] scale_offset
	global_load_b32 v9, v0, s[6:7] scale_offset
	s_wait_xcnt 0x1
	v_div_scale_f32 v1, null, v5, v5, v6
	v_mul_f32_e32 v16, v14, v11
	s_delay_alu instid0(VALU_DEP_2) | instskip(SKIP_1) | instid1(TRANS32_DEP_1)
	v_rcp_f32_e32 v10, v1
	v_nop
	v_fma_f32 v15, -v1, v10, 1.0
	s_delay_alu instid0(VALU_DEP_1) | instskip(NEXT) | instid1(VALU_DEP_1)
	v_fmac_f32_e32 v10, v15, v10
	v_dual_mul_f32 v15, v13, v10 :: v_dual_mul_f32 v17, v18, v12
	s_delay_alu instid0(VALU_DEP_1) | instskip(NEXT) | instid1(VALU_DEP_1)
	v_dual_fma_f32 v19, -v1, v15, v13 :: v_dual_fma_f32 v20, -v2, v16, v14
	v_fmac_f32_e32 v15, v19, v10
	s_delay_alu instid0(VALU_DEP_2) | instskip(NEXT) | instid1(VALU_DEP_2)
	v_dual_fma_f32 v21, -v3, v17, v18 :: v_dual_fmac_f32 v16, v20, v11
	v_fma_f32 v1, -v1, v15, v13
	s_delay_alu instid0(VALU_DEP_2) | instskip(NEXT) | instid1(VALU_DEP_3)
	v_fmac_f32_e32 v17, v21, v12
	v_fma_f32 v2, -v2, v16, v14
	s_delay_alu instid0(VALU_DEP_3) | instskip(NEXT) | instid1(VALU_DEP_3)
	v_div_fmas_f32 v1, v1, v10, v15
	v_fma_f32 v3, -v3, v17, v18
	s_mov_b32 vcc_lo, s0
	s_delay_alu instid0(VALU_DEP_3) | instskip(SKIP_3) | instid1(VALU_DEP_3)
	v_div_fmas_f32 v2, v2, v11, v16
	s_mov_b32 vcc_lo, s1
	v_div_fixup_f32 v1, v1, v5, v6
	v_div_fmas_f32 v10, v3, v12, v17
	v_div_fixup_f32 v3, v2, v5, v7
	s_delay_alu instid0(VALU_DEP_2) | instskip(NEXT) | instid1(VALU_DEP_1)
	v_div_fixup_f32 v2, v10, v5, v8
	v_pk_mul_f32 v[2:3], v[2:3], v[2:3]
	s_delay_alu instid0(VALU_DEP_1) | instskip(NEXT) | instid1(VALU_DEP_1)
	v_fma_f32 v1, v1, v1, v2
	v_dual_mul_f32 v2, 0.5, v5 :: v_dual_add_f32 v1, v1, v3
	s_wait_loadcnt 0x1
	s_delay_alu instid0(VALU_DEP_1) | instskip(NEXT) | instid1(VALU_DEP_1)
	v_fma_f32 v2, -v2, v1, v4
	v_mul_f32_e32 v2, 0x3ecccccc, v2
	v_cmp_gt_f32_e64 s0, 0xf800000, v1
	s_delay_alu instid0(VALU_DEP_2) | instskip(NEXT) | instid1(VALU_DEP_1)
	v_mul_f32_e32 v2, 0x3fb33333, v2
	v_div_scale_f32 v3, null, v5, v5, v2
	v_div_scale_f32 v7, vcc_lo, v2, v5, v2
	s_delay_alu instid0(VALU_DEP_2) | instskip(SKIP_1) | instid1(TRANS32_DEP_1)
	v_rcp_f32_e32 v4, v3
	v_nop
	v_fma_f32 v6, -v3, v4, 1.0
	s_delay_alu instid0(VALU_DEP_1) | instskip(NEXT) | instid1(VALU_DEP_1)
	v_fmac_f32_e32 v4, v6, v4
	v_mul_f32_e32 v6, v7, v4
	s_delay_alu instid0(VALU_DEP_1) | instskip(NEXT) | instid1(VALU_DEP_1)
	v_fma_f32 v8, -v3, v6, v7
	v_fmac_f32_e32 v6, v8, v4
	s_delay_alu instid0(VALU_DEP_1) | instskip(NEXT) | instid1(VALU_DEP_1)
	v_fma_f32 v3, -v3, v6, v7
	v_div_fmas_f32 v3, v3, v4, v6
	s_wait_loadcnt 0x0
	v_cmp_gt_f32_e32 vcc_lo, 0xf800000, v9
	s_delay_alu instid0(VALU_DEP_2) | instskip(SKIP_2) | instid1(VALU_DEP_2)
	v_div_fixup_f32 v2, v3, v5, v2
	v_mul_f32_e32 v4, 0x4f800000, v9
	v_mul_f32_e32 v3, 0x4f800000, v1
	v_dual_mul_f32 v5, 0x4f800000, v2 :: v_dual_cndmask_b32 v4, v9, v4
	v_cmp_gt_f32_e64 s1, 0xf800000, v2
	s_delay_alu instid0(VALU_DEP_3) | instskip(NEXT) | instid1(VALU_DEP_3)
	v_cndmask_b32_e64 v1, v1, v3, s0
	v_sqrt_f32_e32 v3, v4
	s_delay_alu instid0(VALU_DEP_2) | instskip(NEXT) | instid1(VALU_DEP_2)
	v_cndmask_b32_e64 v2, v2, v5, s1
	v_sqrt_f32_e32 v5, v1
	s_delay_alu instid0(VALU_DEP_1) | instskip(NEXT) | instid1(TRANS32_DEP_3)
	v_sqrt_f32_e32 v6, v2
	v_dual_add_nc_u32 v7, -1, v3 :: v_dual_add_nc_u32 v9, 1, v3
	s_delay_alu instid0(TRANS32_DEP_2)
	v_dual_add_nc_u32 v8, -1, v5 :: v_dual_add_nc_u32 v12, 1, v5
	s_delay_alu instid0(TRANS32_DEP_1) | instid1(VALU_DEP_2)
	v_dual_fma_f32 v10, -v7, v3, v4 :: v_dual_add_nc_u32 v11, -1, v6
	s_delay_alu instid0(VALU_DEP_2) | instskip(NEXT) | instid1(VALU_DEP_3)
	v_dual_fma_f32 v13, -v8, v5, v1 :: v_dual_fma_f32 v14, -v9, v3, v4
	v_dual_add_nc_u32 v15, 1, v6 :: v_dual_fma_f32 v17, -v12, v5, v1
	s_delay_alu instid0(VALU_DEP_3) | instskip(NEXT) | instid1(VALU_DEP_3)
	v_fma_f32 v16, -v11, v6, v2
	v_cmp_ge_f32_e64 s2, 0, v13
	s_delay_alu instid0(VALU_DEP_1) | instskip(NEXT) | instid1(VALU_DEP_3)
	v_dual_cndmask_b32 v5, v5, v8, s2 :: v_dual_fma_f32 v8, -v15, v6, v2
	v_cmp_ge_f32_e64 s2, 0, v16
	s_delay_alu instid0(VALU_DEP_1) | instskip(SKIP_1) | instid1(VALU_DEP_1)
	v_cndmask_b32_e64 v6, v6, v11, s2
	v_cmp_ge_f32_e64 s2, 0, v10
	v_cndmask_b32_e64 v3, v3, v7, s2
	v_cmp_lt_f32_e64 s2, 0, v17
	s_delay_alu instid0(VALU_DEP_1) | instskip(SKIP_1) | instid1(VALU_DEP_2)
	v_cndmask_b32_e64 v5, v5, v12, s2
	v_cmp_lt_f32_e64 s2, 0, v8
	v_mul_f32_e32 v7, 0x37800000, v5
	s_delay_alu instid0(VALU_DEP_1) | instskip(NEXT) | instid1(VALU_DEP_3)
	v_cndmask_b32_e64 v5, v5, v7, s0
	v_cndmask_b32_e64 v6, v6, v15, s2
	v_cmp_lt_f32_e64 s2, 0, v14
	s_delay_alu instid0(VALU_DEP_1) | instskip(NEXT) | instid1(VALU_DEP_3)
	v_cndmask_b32_e64 v3, v3, v9, s2
	v_mul_f32_e32 v8, 0x37800000, v6
	s_delay_alu instid0(VALU_DEP_1) | instskip(NEXT) | instid1(VALU_DEP_3)
	v_cndmask_b32_e64 v6, v6, v8, s1
	v_mul_f32_e32 v9, 0x37800000, v3
	s_delay_alu instid0(VALU_DEP_1)
	v_cndmask_b32_e32 v3, v3, v9, vcc_lo
	v_cmp_class_f32_e64 vcc_lo, v1, 0x260
	v_cndmask_b32_e32 v1, v5, v1, vcc_lo
	v_cmp_class_f32_e64 vcc_lo, v2, 0x260
	;; [unrolled: 2-line block ×3, first 2 shown]
	s_delay_alu instid0(VALU_DEP_1) | instskip(NEXT) | instid1(VALU_DEP_1)
	v_dual_cndmask_b32 v3, v3, v4, vcc_lo :: v_dual_add_f32 v1, v1, v2
	v_mul_f32_e32 v1, v3, v1
	s_delay_alu instid0(VALU_DEP_1) | instskip(NEXT) | instid1(VALU_DEP_1)
	v_div_scale_f32 v2, null, v1, v1, 0.5
	v_rcp_f32_e32 v3, v2
	v_nop
	s_delay_alu instid0(TRANS32_DEP_1) | instskip(NEXT) | instid1(VALU_DEP_1)
	v_fma_f32 v4, -v2, v3, 1.0
	v_fmac_f32_e32 v3, v4, v3
	v_div_scale_f32 v4, vcc_lo, 0.5, v1, 0.5
	s_delay_alu instid0(VALU_DEP_1) | instskip(NEXT) | instid1(VALU_DEP_1)
	v_mul_f32_e32 v5, v4, v3
	v_fma_f32 v6, -v2, v5, v4
	s_delay_alu instid0(VALU_DEP_1) | instskip(NEXT) | instid1(VALU_DEP_1)
	v_fmac_f32_e32 v5, v6, v3
	v_fma_f32 v2, -v2, v5, v4
	s_delay_alu instid0(VALU_DEP_1) | instskip(NEXT) | instid1(VALU_DEP_1)
	v_div_fmas_f32 v2, v2, v3, v5
	v_div_fixup_f32 v1, v2, v1, 0.5
	global_store_b32 v0, v1, s[8:9] scale_offset
.LBB2_2:
	s_endpgm
	.section	.rodata,"a",@progbits
	.p2align	6, 0x0
	.amdhsa_kernel _Z19compute_step_factoriPfS_S_
		.amdhsa_group_segment_fixed_size 0
		.amdhsa_private_segment_fixed_size 0
		.amdhsa_kernarg_size 288
		.amdhsa_user_sgpr_count 2
		.amdhsa_user_sgpr_dispatch_ptr 0
		.amdhsa_user_sgpr_queue_ptr 0
		.amdhsa_user_sgpr_kernarg_segment_ptr 1
		.amdhsa_user_sgpr_dispatch_id 0
		.amdhsa_user_sgpr_kernarg_preload_length 0
		.amdhsa_user_sgpr_kernarg_preload_offset 0
		.amdhsa_user_sgpr_private_segment_size 0
		.amdhsa_wavefront_size32 1
		.amdhsa_uses_dynamic_stack 0
		.amdhsa_enable_private_segment 0
		.amdhsa_system_sgpr_workgroup_id_x 1
		.amdhsa_system_sgpr_workgroup_id_y 0
		.amdhsa_system_sgpr_workgroup_id_z 0
		.amdhsa_system_sgpr_workgroup_info 0
		.amdhsa_system_vgpr_workitem_id 0
		.amdhsa_next_free_vgpr 22
		.amdhsa_next_free_sgpr 10
		.amdhsa_named_barrier_count 0
		.amdhsa_reserve_vcc 1
		.amdhsa_float_round_mode_32 0
		.amdhsa_float_round_mode_16_64 0
		.amdhsa_float_denorm_mode_32 3
		.amdhsa_float_denorm_mode_16_64 3
		.amdhsa_fp16_overflow 0
		.amdhsa_memory_ordered 1
		.amdhsa_forward_progress 1
		.amdhsa_inst_pref_size 10
		.amdhsa_round_robin_scheduling 0
		.amdhsa_exception_fp_ieee_invalid_op 0
		.amdhsa_exception_fp_denorm_src 0
		.amdhsa_exception_fp_ieee_div_zero 0
		.amdhsa_exception_fp_ieee_overflow 0
		.amdhsa_exception_fp_ieee_underflow 0
		.amdhsa_exception_fp_ieee_inexact 0
		.amdhsa_exception_int_div_zero 0
	.end_amdhsa_kernel
	.text
.Lfunc_end2:
	.size	_Z19compute_step_factoriPfS_S_, .Lfunc_end2-_Z19compute_step_factoriPfS_S_
                                        ; -- End function
	.set _Z19compute_step_factoriPfS_S_.num_vgpr, 22
	.set _Z19compute_step_factoriPfS_S_.num_agpr, 0
	.set _Z19compute_step_factoriPfS_S_.numbered_sgpr, 10
	.set _Z19compute_step_factoriPfS_S_.num_named_barrier, 0
	.set _Z19compute_step_factoriPfS_S_.private_seg_size, 0
	.set _Z19compute_step_factoriPfS_S_.uses_vcc, 1
	.set _Z19compute_step_factoriPfS_S_.uses_flat_scratch, 0
	.set _Z19compute_step_factoriPfS_S_.has_dyn_sized_stack, 0
	.set _Z19compute_step_factoriPfS_S_.has_recursion, 0
	.set _Z19compute_step_factoriPfS_S_.has_indirect_call, 0
	.section	.AMDGPU.csdata,"",@progbits
; Kernel info:
; codeLenInByte = 1236
; TotalNumSgprs: 12
; NumVgprs: 22
; ScratchSize: 0
; MemoryBound: 0
; FloatMode: 240
; IeeeMode: 1
; LDSByteSize: 0 bytes/workgroup (compile time only)
; SGPRBlocks: 0
; VGPRBlocks: 1
; NumSGPRsForWavesPerEU: 12
; NumVGPRsForWavesPerEU: 22
; NamedBarCnt: 0
; Occupancy: 16
; WaveLimiterHint : 0
; COMPUTE_PGM_RSRC2:SCRATCH_EN: 0
; COMPUTE_PGM_RSRC2:USER_SGPR: 2
; COMPUTE_PGM_RSRC2:TRAP_HANDLER: 0
; COMPUTE_PGM_RSRC2:TGID_X_EN: 1
; COMPUTE_PGM_RSRC2:TGID_Y_EN: 0
; COMPUTE_PGM_RSRC2:TGID_Z_EN: 0
; COMPUTE_PGM_RSRC2:TIDIG_COMP_CNT: 0
	.text
	.protected	_Z12compute_fluxiPiPfS0_S0_S0_P6Float3S2_S2_S2_ ; -- Begin function _Z12compute_fluxiPiPfS0_S0_S0_P6Float3S2_S2_S2_
	.globl	_Z12compute_fluxiPiPfS0_S0_S0_P6Float3S2_S2_S2_
	.p2align	8
	.type	_Z12compute_fluxiPiPfS0_S0_S0_P6Float3S2_S2_S2_,@function
_Z12compute_fluxiPiPfS0_S0_S0_P6Float3S2_S2_S2_: ; @_Z12compute_fluxiPiPfS0_S0_S0_P6Float3S2_S2_S2_
; %bb.0:
	s_clause 0x1
	s_load_b32 s2, s[0:1], 0x5c
	s_load_b32 s34, s[0:1], 0x0
	s_bfe_u32 s3, ttmp6, 0x4000c
	s_and_b32 s4, ttmp6, 15
	s_add_co_i32 s3, s3, 1
	s_getreg_b32 s5, hwreg(HW_REG_IB_STS2, 6, 4)
	s_mul_i32 s3, ttmp9, s3
	s_delay_alu instid0(SALU_CYCLE_1) | instskip(SKIP_4) | instid1(SALU_CYCLE_1)
	s_add_co_i32 s4, s4, s3
	s_wait_kmcnt 0x0
	s_and_b32 s2, s2, 0xffff
	s_cmp_eq_u32 s5, 0
	s_cselect_b32 s3, ttmp9, s4
	v_mad_u32 v0, s3, s2, v0
	s_mov_b32 s2, exec_lo
	s_delay_alu instid0(VALU_DEP_1)
	v_cmpx_gt_i32_e64 s34, v0
	s_cbranch_execz .LBB3_42
; %bb.1:
	s_load_b512 s[4:19], s[0:1], 0x8
	v_add3_u32 v2, s34, s34, v0
	v_ashrrev_i32_e32 v1, 31, v0
	s_ashr_i32 s35, s34, 31
	s_lshl_b32 s23, s34, 2
	s_load_b64 s[44:45], s[0:1], 0x48
                                        ; implicit-def: $vgpr34_vgpr35
                                        ; implicit-def: $vgpr36_vgpr37
	s_delay_alu instid0(VALU_DEP_1)
	v_lshlrev_b64_e32 v[42:43], 2, v[0:1]
	s_wait_kmcnt 0x0
	s_clause 0x1
	global_load_b32 v23, v0, s[8:9] scale_offset
	global_load_b32 v9, v2, s[8:9] scale_offset
	v_add_nc_u64_e32 v[4:5], s[8:9], v[42:43]
	s_delay_alu instid0(VALU_DEP_1)
	v_lshl_add_u64 v[6:7], s[34:35], 2, v[4:5]
	v_add_nc_u32_e32 v4, s34, v2
	s_clause 0x1
	global_load_b32 v8, v[6:7], off
	global_load_b32 v10, v4, s[8:9] scale_offset
	s_wait_loadcnt 0x2
	v_div_scale_f32 v5, null, v23, v23, v9
	v_div_scale_f32 v18, vcc_lo, v9, v23, v9
	v_mov_b32_e32 v31, v9
	s_delay_alu instid0(VALU_DEP_3) | instskip(SKIP_1) | instid1(TRANS32_DEP_1)
	v_rcp_f32_e32 v11, v5
	v_nop
	v_fma_f32 v17, -v5, v11, 1.0
	s_wait_xcnt 0x1
	v_add_nc_u32_e32 v6, s34, v4
	s_wait_loadcnt 0x1
	v_div_scale_f32 v7, null, v23, v23, v8
	s_wait_loadcnt 0x0
	v_div_scale_f32 v13, null, v23, v23, v10
	v_fmac_f32_e32 v11, v17, v11
	global_load_b32 v12, v6, s[8:9] scale_offset
	v_add_nc_u32_e32 v3, s23, v6
	v_rcp_f32_e32 v14, v7
	v_rcp_f32_e32 v16, v13
	v_mul_f32_e32 v21, v18, v11
	s_clause 0x3
	global_load_b32 v15, v0, s[4:5] scale_offset
	global_load_b32 v40, v0, s[6:7] scale_offset
	;; [unrolled: 1-line block ×4, first 2 shown]
	v_div_scale_f32 v20, s2, v8, v23, v8
	v_fma_f32 v19, -v7, v14, 1.0
	v_fma_f32 v17, -v13, v16, 1.0
	v_fma_f32 v22, -v5, v21, v18
	s_delay_alu instid0(VALU_DEP_2) | instskip(SKIP_1) | instid1(VALU_DEP_2)
	v_dual_fmac_f32 v14, v19, v14 :: v_dual_fmac_f32 v16, v17, v16
	v_div_scale_f32 v19, s3, v10, v23, v10
	v_dual_fmac_f32 v21, v22, v11 :: v_dual_mul_f32 v17, v20, v14
	s_delay_alu instid0(VALU_DEP_1) | instskip(NEXT) | instid1(VALU_DEP_1)
	v_dual_mul_f32 v24, v19, v16 :: v_dual_fma_f32 v5, -v5, v21, v18
	v_dual_fma_f32 v25, -v7, v17, v20 :: v_dual_fma_f32 v22, -v13, v24, v19
	s_delay_alu instid0(VALU_DEP_2) | instskip(NEXT) | instid1(VALU_DEP_2)
	v_div_fmas_f32 v5, v5, v11, v21
	v_fmac_f32_e32 v17, v25, v14
	s_mov_b32 vcc_lo, s2
	s_delay_alu instid0(VALU_DEP_3) | instskip(NEXT) | instid1(VALU_DEP_3)
	v_fmac_f32_e32 v24, v22, v16
	v_div_fixup_f32 v29, v5, v23, v9
	s_delay_alu instid0(VALU_DEP_2) | instskip(NEXT) | instid1(VALU_DEP_1)
	v_dual_fma_f32 v7, -v7, v17, v20 :: v_dual_fma_f32 v11, -v13, v24, v19
	v_div_fmas_f32 v7, v7, v14, v17
	s_mov_b32 vcc_lo, s3
	s_delay_alu instid0(VALU_DEP_2) | instskip(NEXT) | instid1(VALU_DEP_2)
	v_div_fmas_f32 v5, v11, v16, v24
	v_div_fixup_f32 v28, v7, v23, v8
	v_mul_f32_e32 v7, -0.5, v23
	s_delay_alu instid0(VALU_DEP_3) | instskip(NEXT) | instid1(VALU_DEP_3)
	v_div_fixup_f32 v11, v5, v23, v10
	v_pk_mul_f32 v[16:17], v[28:29], v[28:29]
	s_delay_alu instid0(VALU_DEP_1) | instskip(NEXT) | instid1(VALU_DEP_1)
	v_add_f32_e32 v5, v16, v17
	v_fmac_f32_e32 v5, v11, v11
	s_wait_loadcnt 0x4
	s_delay_alu instid0(VALU_DEP_1) | instskip(NEXT) | instid1(VALU_DEP_1)
	v_fma_f32 v13, v7, v5, v12
	v_mul_f32_e32 v30, 0x3ecccccc, v13
	v_cmp_gt_f32_e64 s2, 0xf800000, v5
	s_delay_alu instid0(VALU_DEP_2) | instskip(NEXT) | instid1(VALU_DEP_1)
	v_mul_f32_e32 v7, 0x3fb33333, v30
	v_div_scale_f32 v14, null, v23, v23, v7
	v_div_scale_f32 v18, vcc_lo, v7, v23, v7
	s_delay_alu instid0(VALU_DEP_2) | instskip(SKIP_1) | instid1(TRANS32_DEP_1)
	v_rcp_f32_e32 v16, v14
	v_nop
	v_fma_f32 v17, -v14, v16, 1.0
	s_delay_alu instid0(VALU_DEP_1) | instskip(NEXT) | instid1(VALU_DEP_1)
	v_fmac_f32_e32 v16, v17, v16
	v_mul_f32_e32 v17, v18, v16
	s_delay_alu instid0(VALU_DEP_1) | instskip(NEXT) | instid1(VALU_DEP_1)
	v_fma_f32 v19, -v14, v17, v18
	v_fmac_f32_e32 v17, v19, v16
	s_delay_alu instid0(VALU_DEP_1) | instskip(NEXT) | instid1(VALU_DEP_1)
	v_dual_fma_f32 v14, -v14, v17, v18 :: v_dual_mul_f32 v18, v8, v28
	v_div_fmas_f32 v14, v14, v16, v17
	s_delay_alu instid0(VALU_DEP_1) | instskip(SKIP_1) | instid1(VALU_DEP_2)
	v_div_fixup_f32 v7, v14, v23, v7
	v_mul_f32_e32 v14, 0x4f800000, v5
	v_mul_f32_e32 v16, 0x4f800000, v7
	v_cmp_gt_f32_e64 s3, 0xf800000, v7
	s_delay_alu instid0(VALU_DEP_1) | instskip(NEXT) | instid1(VALU_DEP_1)
	v_dual_cndmask_b32 v5, v5, v14, s2 :: v_dual_cndmask_b32 v7, v7, v16, s3
	v_sqrt_f32_e32 v22, v5
	v_mov_b32_e32 v19, v28
	v_pk_mul_f32 v[16:17], v[28:29], v[10:11] op_sel_hi:[1,0]
	v_cmp_class_f32_e64 vcc_lo, v5, 0x260
	v_sqrt_f32_e32 v24, v7
	s_delay_alu instid0(TRANS32_DEP_2)
	v_dual_fmamk_f32 v14, v13, 0x3ecccccc, v12 :: v_dual_add_nc_u32 v25, -1, v22
	v_add_nc_u32_e32 v32, 1, v22
	v_pk_add_f32 v[20:21], v[30:31], v[18:19]
	s_delay_alu instid0(TRANS32_DEP_1) | instid1(VALU_DEP_3)
	v_dual_add_nc_u32 v13, -1, v24 :: v_dual_fma_f32 v26, -v25, v22, v5
	s_delay_alu instid0(VALU_DEP_1) | instskip(NEXT) | instid1(VALU_DEP_2)
	v_dual_add_nc_u32 v21, 1, v24 :: v_dual_fma_f32 v27, -v13, v24, v7
	v_cmp_ge_f32_e64 s0, 0, v26
	s_delay_alu instid0(VALU_DEP_1) | instskip(NEXT) | instid1(VALU_DEP_3)
	v_dual_fma_f32 v33, -v32, v22, v5 :: v_dual_cndmask_b32 v22, v22, v25, s0
	v_cmp_ge_f32_e64 s0, 0, v27
	s_delay_alu instid0(VALU_DEP_4) | instskip(SKIP_1) | instid1(VALU_DEP_3)
	v_fma_f32 v25, -v21, v24, v7
	v_pk_mul_f32 v[26:27], v[30:31], v[18:19]
	v_dual_fma_f32 v18, v10, v11, v30 :: v_dual_cndmask_b32 v13, v24, v13, s0
	v_cmp_lt_f32_e64 s0, 0, v33
	v_fma_f32 v24, v9, v29, v30
	s_wait_loadcnt 0x3
	v_pk_mul_f32 v[28:29], v[28:29], v[14:15] op_sel_hi:[1,0]
                                        ; implicit-def: $vgpr33
	s_delay_alu instid0(VALU_DEP_3) | instskip(SKIP_1) | instid1(VALU_DEP_1)
	v_cndmask_b32_e64 v19, v22, v32, s0
	v_cmp_lt_f32_e64 s0, 0, v25
	v_cndmask_b32_e64 v13, v13, v21, s0
	s_delay_alu instid0(VALU_DEP_3) | instskip(SKIP_1) | instid1(VALU_DEP_3)
	v_dual_mul_f32 v22, 0x37800000, v19 :: v_dual_mov_b32 v21, v27
	v_cmp_class_f32_e64 s0, v7, 0x260
	v_dual_mul_f32 v25, 0x37800000, v13 :: v_dual_mul_f32 v14, v11, v14
	s_delay_alu instid0(VALU_DEP_3) | instskip(SKIP_1) | instid1(VALU_DEP_2)
	v_cndmask_b32_e64 v11, v19, v22, s2
	s_mov_b32 s2, exec_lo
	v_cndmask_b32_e64 v13, v13, v25, s3
	s_wait_xcnt 0x0
	v_cmpx_gt_i32_e32 0, v15
	s_xor_b32 s2, exec_lo, s2
	s_cbranch_execz .LBB3_9
; %bb.2:
	v_cmp_lt_i32_e64 s1, -2, v15
                                        ; implicit-def: $vgpr34_vgpr35
                                        ; implicit-def: $vgpr33
	s_and_saveexec_b32 s3, s1
	s_delay_alu instid0(SALU_CYCLE_1)
	s_xor_b32 s1, exec_lo, s3
	s_cbranch_execz .LBB3_4
; %bb.3:
	s_wait_loadcnt 0x2
	v_mov_b32_e32 v38, v40
	s_wait_loadcnt 0x1
	v_fma_f32 v33, v30, v41, 0
                                        ; implicit-def: $vgpr15
                                        ; implicit-def: $vgpr40
	s_wait_loadcnt 0x0
	s_delay_alu instid0(VALU_DEP_2)
	v_pk_fma_f32 v[34:35], v[30:31], v[38:39], 0 op_sel_hi:[0,1,0]
                                        ; implicit-def: $vgpr39
.LBB3_4:
	s_or_saveexec_b32 s3, s1
	v_mov_b64_e32 v[36:37], 0
	s_xor_b32 exec_lo, exec_lo, s3
	s_cbranch_execz .LBB3_8
; %bb.5:
	v_mov_b64_e32 v[34:35], 0
	v_mov_b64_e32 v[36:37], 0
	v_mov_b32_e32 v33, 0
	s_mov_b32 s27, exec_lo
	v_cmpx_eq_u32_e32 -2, v15
	s_cbranch_execz .LBB3_7
; %bb.6:
	s_load_b96 s[28:30], s[10:11], 0x4
	s_load_b96 s[24:26], s[18:19], 0x0
	;; [unrolled: 1-line block ×5, first 2 shown]
	s_wait_loadcnt 0x0
	v_dual_mul_f32 v22, 0.5, v40 :: v_dual_mov_b32 v40, v39
	v_dual_mov_b32 v32, v9 :: v_dual_mov_b32 v33, v10
	v_dual_mov_b32 v25, v17 :: v_dual_mov_b32 v34, v28
	v_mov_b32_e32 v35, v8
	s_delay_alu instid0(VALU_DEP_4)
	v_pk_mul_f32 v[36:37], v[40:41], 0.5 op_sel_hi:[1,0]
	v_dual_mov_b32 v52, v17 :: v_dual_mov_b32 v53, v18
	s_wait_kmcnt 0x0
	v_dual_mov_b32 v38, s29 :: v_dual_mov_b32 v39, s30
	v_dual_mov_b32 v40, s25 :: v_dual_mov_b32 v41, s26
	v_dual_mov_b32 v44, s41 :: v_dual_add_f32 v19, s37, v29
	v_dual_add_f32 v26, s21, v27 :: v_dual_add_f32 v49, s38, v14
	v_dual_mov_b32 v46, s36 :: v_dual_mov_b32 v47, s28
	v_pk_add_f32 v[32:33], v[32:33], v[38:39]
	v_dual_mov_b32 v45, s42 :: v_dual_add_f32 v15, s40, v16
	v_mul_f32_e32 v38, v36, v19
	s_delay_alu instid0(VALU_DEP_4) | instskip(NEXT) | instid1(VALU_DEP_4)
	v_pk_add_f32 v[34:35], v[34:35], v[46:47]
	v_pk_mul_f32 v[32:33], v[36:37], v[32:33]
	v_dual_mov_b32 v46, s20 :: v_dual_mov_b32 v47, s24
	v_pk_add_f32 v[40:41], v[24:25], v[40:41]
	s_delay_alu instid0(VALU_DEP_4) | instskip(NEXT) | instid1(VALU_DEP_4)
	v_pk_fma_f32 v[34:35], v[22:23], v[34:35], 0 op_sel_hi:[0,1,0]
	v_dual_mov_b32 v39, v32 :: v_dual_add_f32 v19, s22, v16
	s_delay_alu instid0(VALU_DEP_4) | instskip(NEXT) | instid1(VALU_DEP_4)
	v_pk_add_f32 v[46:47], v[20:21], v[46:47]
	v_pk_mul_f32 v[40:41], v[36:37], v[40:41]
	v_pk_add_f32 v[44:45], v[52:53], v[44:45]
	v_fma_f32 v15, v22, v15, 0
	v_dual_mul_f32 v48, v36, v26 :: v_dual_mul_f32 v50, v37, v49
	v_pk_fma_f32 v[46:47], v[22:23], v[46:47], 0 op_sel_hi:[0,1,0]
	v_dual_mov_b32 v49, v40 :: v_dual_mov_b32 v51, v33
	v_pk_add_f32 v[34:35], v[34:35], v[38:39]
	v_pk_mul_f32 v[38:39], v[36:37], v[44:45]
	v_mul_f32_e32 v40, v37, v19
	s_delay_alu instid0(VALU_DEP_4) | instskip(NEXT) | instid1(VALU_DEP_4)
	v_pk_add_f32 v[32:33], v[46:47], v[48:49]
	v_pk_add_f32 v[36:37], v[34:35], v[50:51]
	s_delay_alu instid0(VALU_DEP_4) | instskip(NEXT) | instid1(VALU_DEP_3)
	v_add_f32_e32 v15, v15, v38
	v_pk_add_f32 v[34:35], v[32:33], v[40:41]
	s_delay_alu instid0(VALU_DEP_2)
	v_add_f32_e32 v33, v15, v39
.LBB3_7:
	s_or_b32 exec_lo, exec_lo, s27
.LBB3_8:
	s_delay_alu instid0(SALU_CYCLE_1)
	s_or_b32 exec_lo, exec_lo, s3
                                        ; implicit-def: $vgpr40
                                        ; implicit-def: $vgpr39
                                        ; implicit-def: $vgpr15
.LBB3_9:
	s_or_saveexec_b32 s2, s2
	v_add_nc_u64_e32 v[44:45], s[4:5], v[42:43]
	v_add_nc_u64_e32 v[42:43], s[6:7], v[42:43]
	v_dual_cndmask_b32 v56, v11, v5, vcc_lo :: v_dual_cndmask_b32 v25, v13, v7, s0
	s_xor_b32 exec_lo, exec_lo, s2
	s_cbranch_execz .LBB3_11
; %bb.10:
	v_add_nc_u32_e32 v5, s34, v15
	s_wait_loadcnt 0x1
	v_pk_mul_f32 v[52:53], v[40:41], v[40:41]
	s_delay_alu instid0(VALU_DEP_2)
	v_add_nc_u32_e32 v7, s34, v5
	s_clause 0x1
	global_load_b32 v37, v15, s[8:9] scale_offset
	global_load_b32 v33, v7, s[8:9] scale_offset
	s_wait_loadcnt 0x0
	v_div_scale_f32 v38, vcc_lo, v33, v37, v33
	v_add_nc_u32_e32 v7, s34, v7
	s_clause 0x1
	global_load_b32 v36, v5, s[8:9] scale_offset
	global_load_b32 v34, v7, s[8:9] scale_offset
	s_wait_loadcnt 0x1
	v_div_scale_f32 v11, null, v37, v37, v36
	s_wait_loadcnt 0x0
	v_div_scale_f32 v15, null, v37, v37, v34
	v_div_scale_f32 v32, s0, v36, v37, v36
	s_delay_alu instid0(VALU_DEP_3) | instskip(NEXT) | instid1(VALU_DEP_2)
	v_rcp_f32_e32 v19, v11
	v_rcp_f32_e32 v22, v15
	v_add_nc_u32_e32 v5, s34, v7
	v_div_scale_f32 v7, null, v37, v37, v33
	v_pk_add_f32 v[60:61], v[8:9], v[36:37]
	s_delay_alu instid0(TRANS32_DEP_2) | instskip(NEXT) | instid1(VALU_DEP_3)
	v_fma_f32 v35, -v11, v19, 1.0
	v_rcp_f32_e32 v13, v7
	s_delay_alu instid0(VALU_DEP_1) | instskip(SKIP_1) | instid1(TRANS32_DEP_1)
	v_fmac_f32_e32 v19, v35, v19
	v_div_scale_f32 v35, s1, v34, v37, v34
	v_fma_f32 v26, -v7, v13, 1.0
	s_delay_alu instid0(VALU_DEP_1) | instskip(SKIP_1) | instid1(VALU_DEP_2)
	v_fmac_f32_e32 v13, v26, v13
	v_fma_f32 v26, -v15, v22, 1.0
	v_mul_f32_e32 v46, v38, v13
	s_delay_alu instid0(VALU_DEP_2) | instskip(SKIP_2) | instid1(VALU_DEP_1)
	v_fmac_f32_e32 v22, v26, v22
	global_load_b32 v5, v5, s[8:9] scale_offset
	v_dual_mul_f32 v26, v32, v19 :: v_dual_fma_f32 v47, -v7, v46, v38
	v_fma_f32 v49, -v11, v26, v32
	s_delay_alu instid0(VALU_DEP_1) | instskip(NEXT) | instid1(VALU_DEP_3)
	v_dual_mul_f32 v48, v35, v22 :: v_dual_fmac_f32 v26, v49, v19
	v_fmac_f32_e32 v46, v47, v13
	s_delay_alu instid0(VALU_DEP_2) | instskip(NEXT) | instid1(VALU_DEP_3)
	v_fma_f32 v47, -v15, v48, v35
	v_fma_f32 v11, -v11, v26, v32
	s_delay_alu instid0(VALU_DEP_2) | instskip(NEXT) | instid1(VALU_DEP_4)
	v_fmac_f32_e32 v48, v47, v22
	v_fma_f32 v7, -v7, v46, v38
	s_delay_alu instid0(VALU_DEP_1) | instskip(NEXT) | instid1(VALU_DEP_3)
	v_div_fmas_f32 v7, v7, v13, v46
	v_fma_f32 v13, -v15, v48, v35
	s_mov_b32 vcc_lo, s0
	v_div_fmas_f32 v11, v11, v19, v26
	s_mov_b32 vcc_lo, s1
	v_div_fixup_f32 v7, v7, v37, v33
	v_div_fmas_f32 v13, v13, v22, v48
	v_fma_f32 v22, v39, v39, v52
	v_div_fixup_f32 v46, v11, v37, v36
	v_mov_b32_e32 v52, 0.5
	s_delay_alu instid0(VALU_DEP_4) | instskip(SKIP_2) | instid1(VALU_DEP_3)
	v_div_fixup_f32 v47, v13, v37, v34
	v_mul_f32_e32 v13, 0.5, v37
	v_dual_add_f32 v22, v22, v53 :: v_dual_mov_b32 v35, 0x3ecccccc
	v_pk_mul_f32 v[48:49], v[46:47], v[46:47]
	s_delay_alu instid0(VALU_DEP_2) | instskip(NEXT) | instid1(VALU_DEP_2)
	v_cmp_gt_f32_e64 s0, 0xf800000, v22
	v_fma_f32 v11, v7, v7, v48
	v_mov_b32_e32 v48, v47
	s_delay_alu instid0(VALU_DEP_2) | instskip(SKIP_1) | instid1(VALU_DEP_1)
	v_add_f32_e32 v11, v11, v49
	s_wait_loadcnt 0x0
	v_fma_f32 v49, -v13, v11, v5
	s_delay_alu instid0(VALU_DEP_1) | instskip(NEXT) | instid1(VALU_DEP_1)
	v_pk_mul_f32 v[50:51], v[34:35], v[48:49]
	v_mul_f32_e32 v13, 0x3fb33333, v51
	v_fma_f32 v62, v36, v46, v51
	s_delay_alu instid0(VALU_DEP_2) | instskip(NEXT) | instid1(VALU_DEP_1)
	v_div_scale_f32 v15, null, v37, v37, v13
	v_rcp_f32_e32 v19, v15
	v_nop
	s_delay_alu instid0(TRANS32_DEP_1) | instskip(NEXT) | instid1(VALU_DEP_1)
	v_fma_f32 v26, -v15, v19, 1.0
	v_dual_fmac_f32 v19, v26, v19 :: v_dual_mul_f32 v26, 0x4f800000, v22
	v_cmp_gt_f32_e64 s1, 0xf800000, v11
	s_delay_alu instid0(VALU_DEP_2) | instskip(NEXT) | instid1(VALU_DEP_1)
	v_cndmask_b32_e64 v26, v22, v26, s0
	v_sqrt_f32_e32 v50, v26
	v_nop
	s_delay_alu instid0(TRANS32_DEP_1) | instskip(SKIP_1) | instid1(VALU_DEP_1)
	v_add_nc_u32_e32 v54, 1, v50
	v_div_scale_f32 v32, vcc_lo, v13, v37, v13
	v_dual_mul_f32 v38, v32, v19 :: v_dual_add_nc_u32 v53, -1, v50
	s_delay_alu instid0(VALU_DEP_1) | instskip(NEXT) | instid1(VALU_DEP_1)
	v_fma_f32 v22, -v15, v38, v32
	v_fmac_f32_e32 v38, v22, v19
	v_mul_f32_e32 v22, 0x4f800000, v11
	s_delay_alu instid0(VALU_DEP_2) | instskip(NEXT) | instid1(VALU_DEP_2)
	v_fma_f32 v15, -v15, v38, v32
	v_dual_cndmask_b32 v32, v11, v22, s1 :: v_dual_mov_b32 v22, v8
	s_delay_alu instid0(VALU_DEP_2) | instskip(SKIP_1) | instid1(VALU_DEP_3)
	v_div_fmas_f32 v11, v15, v19, v38
	v_dual_fma_f32 v15, -v53, v50, v26 :: v_dual_fma_f32 v19, -v54, v50, v26
	v_sqrt_f32_e32 v55, v32
	v_mov_b32_e32 v38, v41
	s_delay_alu instid0(VALU_DEP_3) | instskip(NEXT) | instid1(VALU_DEP_3)
	v_div_fixup_f32 v11, v11, v37, v13
	v_cmp_ge_f32_e32 vcc_lo, 0, v15
	s_delay_alu instid0(VALU_DEP_3) | instskip(NEXT) | instid1(VALU_DEP_3)
	v_pk_mul_f32 v[38:39], v[38:39], 0.5 op_sel_hi:[1,0]
	v_mul_f32_e32 v15, 0x4f800000, v11
	v_cndmask_b32_e32 v13, v50, v53, vcc_lo
	v_cmp_lt_f32_e32 vcc_lo, 0, v19
	v_dual_mov_b32 v50, v16 :: v_dual_add_nc_u32 v41, -1, v55
	s_delay_alu instid0(VALU_DEP_3) | instskip(SKIP_1) | instid1(VALU_DEP_3)
	v_cndmask_b32_e32 v13, v13, v54, vcc_lo
	v_cmp_gt_f32_e32 vcc_lo, 0xf800000, v11
	v_dual_fma_f32 v57, -v41, v55, v32 :: v_dual_add_nc_u32 v54, 1, v55
	v_mov_b32_e32 v19, v17
	s_delay_alu instid0(VALU_DEP_4) | instskip(SKIP_1) | instid1(VALU_DEP_1)
	v_mul_f32_e32 v53, 0x37800000, v13
	v_dual_cndmask_b32 v15, v11, v15, vcc_lo :: v_dual_mov_b32 v11, v9
	v_sqrt_f32_e32 v58, v15
	s_delay_alu instid0(VALU_DEP_2) | instskip(SKIP_1) | instid1(VALU_DEP_1)
	v_cndmask_b32_e64 v13, v13, v53, s0
	v_cmp_ge_f32_e64 s0, 0, v57
	v_dual_fma_f32 v53, -v54, v55, v32 :: v_dual_cndmask_b32 v41, v55, v41, s0
	v_cmp_class_f32_e64 s0, v26, 0x260
	s_delay_alu instid0(TRANS32_DEP_1) | instskip(NEXT) | instid1(VALU_DEP_2)
	v_add_nc_u32_e32 v55, -1, v58
	v_cndmask_b32_e64 v13, v13, v26, s0
	s_delay_alu instid0(VALU_DEP_4) | instskip(SKIP_1) | instid1(VALU_DEP_3)
	v_cmp_lt_f32_e64 s0, 0, v53
	v_add_nc_u32_e32 v53, 1, v58
	v_mul_f32_e32 v13, 0xbe4ccccd, v13
	s_delay_alu instid0(VALU_DEP_3) | instskip(NEXT) | instid1(VALU_DEP_3)
	v_cndmask_b32_e64 v26, v41, v54, s0
	v_dual_fma_f32 v41, -v55, v58, v15 :: v_dual_fma_f32 v57, -v53, v58, v15
	s_delay_alu instid0(VALU_DEP_1) | instskip(NEXT) | instid1(VALU_DEP_1)
	v_cmp_ge_f32_e64 s0, 0, v41
	v_dual_mul_f32 v41, 0.5, v13 :: v_dual_cndmask_b32 v58, v58, v55, s0
	s_delay_alu instid0(VALU_DEP_4) | instskip(NEXT) | instid1(VALU_DEP_4)
	v_dual_mul_f32 v54, 0x37800000, v26 :: v_dual_mov_b32 v55, v39
	v_cmp_lt_f32_e64 s0, 0, v57
	s_delay_alu instid0(VALU_DEP_2) | instskip(NEXT) | instid1(VALU_DEP_2)
	v_dual_sub_f32 v57, v8, v36 :: v_dual_cndmask_b32 v13, v26, v54, s1
	v_cndmask_b32_e64 v26, v58, v53, s0
	v_cmp_class_f32_e64 s0, v32, 0x260
	v_pk_add_f32 v[58:59], v[22:23], v[36:37] neg_lo:[0,1] neg_hi:[0,1]
	v_sub_f32_e32 v37, v9, v33
	s_delay_alu instid0(VALU_DEP_3) | instskip(NEXT) | instid1(VALU_DEP_3)
	v_cndmask_b32_e64 v13, v13, v32, s0
	v_dual_mul_f32 v22, 0x37800000, v26 :: v_dual_mov_b32 v61, v59
	s_delay_alu instid0(VALU_DEP_2) | instskip(NEXT) | instid1(VALU_DEP_2)
	v_dual_mov_b32 v32, v34 :: v_dual_add_f32 v13, v56, v13
	v_cndmask_b32_e32 v22, v26, v22, vcc_lo
	v_cmp_class_f32_e64 vcc_lo, v15, 0x260
	v_sub_f32_e32 v59, v10, v34
	v_mul_f32_e32 v63, v33, v46
	s_delay_alu instid0(VALU_DEP_3) | instskip(SKIP_1) | instid1(VALU_DEP_3)
	v_dual_add_f32 v13, v25, v13 :: v_dual_cndmask_b32 v15, v22, v15, vcc_lo
	v_dual_add_f32 v22, v5, v51 :: v_dual_sub_f32 v5, v12, v5
	v_pk_add_f32 v[62:63], v[20:21], v[62:63]
	s_delay_alu instid0(VALU_DEP_2) | instskip(SKIP_1) | instid1(VALU_DEP_3)
	v_dual_add_f32 v53, v13, v15 :: v_dual_mul_f32 v64, v47, v22
	v_dual_mul_f32 v13, v34, v7 :: v_dual_mov_b32 v47, v7
	v_mov_b32_e32 v36, v63
	s_delay_alu instid0(VALU_DEP_3) | instskip(SKIP_1) | instid1(VALU_DEP_4)
	v_pk_mul_f32 v[40:41], v[40:41], v[52:53]
	v_dual_mul_f32 v52, v46, v34 :: v_dual_mov_b32 v26, v51
	v_pk_fma_f32 v[46:47], v[46:47], v[22:23], v[28:29] op_sel_hi:[1,0,1]
	s_delay_alu instid0(VALU_DEP_3) | instskip(SKIP_1) | instid1(VALU_DEP_4)
	v_pk_mul_f32 v[36:37], v[40:41], v[36:37]
	v_dual_mov_b32 v54, v40 :: v_dual_fma_f32 v7, v33, v7, v51
	v_pk_fma_f32 v[34:35], v[34:35], v[48:49], v[26:27]
	v_fma_f32 v5, v5, v41, 0
	s_delay_alu instid0(VALU_DEP_4)
	v_dual_add_f32 v53, 0, v37 :: v_dual_mov_b32 v51, v36
	v_mov_b32_e32 v35, v13
	v_pk_mul_f32 v[46:47], v[54:55], v[46:47]
	v_pk_mul_f32 v[36:37], v[40:41], v[60:61]
	v_fma_f32 v13, v57, v41, 0
	v_pk_add_f32 v[48:49], v[50:51], v[52:53]
	v_pk_add_f32 v[32:33], v[10:11], v[32:33]
	s_delay_alu instid0(VALU_DEP_4) | instskip(NEXT) | instid1(VALU_DEP_3)
	v_dual_add_f32 v5, v46, v5 :: v_dual_mov_b32 v15, v36
	v_dual_add_f32 v65, 0, v37 :: v_dual_mov_b32 v58, v48
	v_pk_mul_f32 v[36:37], v[54:55], v[62:63]
	s_delay_alu instid0(VALU_DEP_3) | instskip(NEXT) | instid1(VALU_DEP_3)
	v_dual_add_f32 v46, v47, v5 :: v_dual_add_f32 v53, v24, v7
	v_pk_add_f32 v[50:51], v[14:15], v[64:65]
	v_pk_add_f32 v[34:35], v[18:19], v[34:35]
	s_delay_alu instid0(VALU_DEP_4) | instskip(SKIP_3) | instid1(VALU_DEP_4)
	v_add_f32_e32 v5, v36, v13
	v_pk_mul_f32 v[40:41], v[40:41], v[58:59]
	v_mul_f32_e32 v47, v38, v32
	v_pk_fma_f32 v[54:55], v[38:39], v[32:33], v[50:51]
	v_dual_mov_b32 v52, v35 :: v_dual_add_f32 v54, v37, v5
	s_delay_alu instid0(VALU_DEP_4) | instskip(SKIP_2) | instid1(VALU_DEP_4)
	v_add_f32_e32 v5, 0, v41
	v_pk_mul_f32 v[36:37], v[38:39], v[50:51]
	v_pk_mul_f32 v[32:33], v[38:39], v[48:49]
	v_pk_fma_f32 v[50:51], v[38:39], v[52:53], v[48:49]
	v_pk_mul_f32 v[52:53], v[38:39], v[34:35]
	v_dual_add_f32 v5, v40, v5 :: v_dual_mov_b32 v37, v55
	s_delay_alu instid0(VALU_DEP_3) | instskip(NEXT) | instid1(VALU_DEP_2)
	v_dual_mov_b32 v33, v51 :: v_dual_mul_f32 v55, v38, v35
	v_add_f32_e32 v5, v53, v5
	s_delay_alu instid0(VALU_DEP_3) | instskip(NEXT) | instid1(VALU_DEP_3)
	v_pk_add_f32 v[36:37], v[46:47], v[36:37]
	v_pk_add_f32 v[34:35], v[54:55], v[32:33]
	s_delay_alu instid0(VALU_DEP_3)
	v_add_f32_e32 v33, v52, v5
.LBB3_11:
	s_or_b32 exec_lo, exec_lo, s2
	s_mul_i32 s3, s34, -3
	s_lshl_b64 s[0:1], s[34:35], 2
	v_add_nc_u32_e32 v7, s3, v3
	s_wait_loadcnt 0x0
	v_add_nc_u64_e32 v[38:39], s[0:1], v[44:45]
	v_add_nc_u64_e32 v[42:43], s[0:1], v[42:43]
	s_mov_b32 s0, exec_lo
	v_add_nc_u32_e32 v3, s23, v7
	global_load_b32 v5, v[38:39], off
	s_clause 0x2
	global_load_b32 v38, v[42:43], off
	global_load_b32 v40, v7, s[6:7] scale_offset
	global_load_b32 v41, v3, s[6:7] scale_offset
	s_wait_loadcnt 0x3
	s_wait_xcnt 0x0
	v_cmpx_gt_i32_e32 0, v5
	s_xor_b32 s27, exec_lo, s0
	s_cbranch_execz .LBB3_19
; %bb.12:
	s_mov_b32 s0, exec_lo
	v_cmpx_lt_i32_e32 -2, v5
	s_xor_b32 s0, exec_lo, s0
	s_cbranch_execz .LBB3_14
; %bb.13:
	s_wait_loadcnt 0x0
	v_dual_mov_b32 v39, v40 :: v_dual_fmac_f32 v33, v30, v41
                                        ; implicit-def: $vgpr5
                                        ; implicit-def: $vgpr40
	s_delay_alu instid0(VALU_DEP_1)
	v_pk_fma_f32 v[34:35], v[30:31], v[38:39], v[34:35] op_sel_hi:[0,1,1]
                                        ; implicit-def: $vgpr38
.LBB3_14:
	s_and_not1_saveexec_b32 s31, s0
	s_cbranch_execz .LBB3_18
; %bb.15:
	s_mov_b32 s33, exec_lo
	v_cmpx_eq_u32_e32 -2, v5
	s_cbranch_execz .LBB3_17
; %bb.16:
	s_load_b96 s[24:26], s[44:45], 0x0
	s_load_b96 s[20:22], s[14:15], 0x0
	;; [unrolled: 1-line block ×5, first 2 shown]
	s_wait_loadcnt 0x2
	v_mul_f32_e32 v22, 0.5, v38
	s_wait_loadcnt 0x0
	v_pk_mul_f32 v[38:39], v[40:41], 0.5 op_sel_hi:[1,0]
	v_dual_mov_b32 v40, v28 :: v_dual_mov_b32 v41, v8
	v_dual_mov_b32 v42, v29 :: v_dual_mov_b32 v43, v9
	;; [unrolled: 1-line block ×4, first 2 shown]
	s_wait_kmcnt 0x0
	v_dual_mov_b32 v15, v10 :: v_dual_mov_b32 v48, s25
	v_dual_mov_b32 v50, s20 :: v_dual_mov_b32 v51, s0
	v_dual_mov_b32 v49, s26 :: v_dual_add_f32 v5, s24, v16
	v_dual_mov_b32 v52, s28 :: v_dual_mov_b32 v53, s36
	v_dual_mov_b32 v58, s29 :: v_dual_mov_b32 v59, s37
	s_delay_alu instid0(VALU_DEP_4) | instskip(SKIP_1) | instid1(VALU_DEP_4)
	v_pk_add_f32 v[40:41], v[40:41], v[50:51]
	v_dual_mov_b32 v54, s21 :: v_dual_mov_b32 v55, s1
	v_pk_add_f32 v[50:51], v[20:21], v[52:53]
	v_fmac_f32_e32 v33, v22, v5
	s_delay_alu instid0(VALU_DEP_4)
	v_pk_fma_f32 v[36:37], v[22:23], v[40:41], v[36:37] op_sel_hi:[0,1,1]
	v_pk_add_f32 v[40:41], v[44:45], v[58:59]
	v_pk_add_f32 v[44:45], v[46:47], v[48:49]
	;; [unrolled: 1-line block ×3, first 2 shown]
	v_pk_fma_f32 v[34:35], v[22:23], v[50:51], v[34:35] op_sel_hi:[0,1,1]
	v_dual_mov_b32 v46, s22 :: v_dual_mov_b32 v47, s2
	v_dual_mov_b32 v48, s30 :: v_dual_mov_b32 v49, s38
	v_pk_mul_f32 v[44:45], v[38:39], v[44:45]
	v_pk_fma_f32 v[36:37], v[38:39], v[42:43], v[36:37] op_sel_hi:[0,1,1]
	v_pk_fma_f32 v[34:35], v[38:39], v[40:41], v[34:35] op_sel_hi:[0,1,1]
	v_pk_add_f32 v[40:41], v[14:15], v[46:47]
	v_pk_add_f32 v[42:43], v[16:17], v[48:49]
	v_add_f32_e32 v5, v33, v44
	s_delay_alu instid0(VALU_DEP_3) | instskip(NEXT) | instid1(VALU_DEP_3)
	v_pk_fma_f32 v[36:37], v[38:39], v[40:41], v[36:37] op_sel:[1,0,0]
	v_pk_fma_f32 v[34:35], v[38:39], v[42:43], v[34:35] op_sel:[1,0,0]
	s_delay_alu instid0(VALU_DEP_3)
	v_add_f32_e32 v33, v5, v45
.LBB3_17:
	s_or_b32 exec_lo, exec_lo, s33
.LBB3_18:
	s_delay_alu instid0(SALU_CYCLE_1)
	s_or_b32 exec_lo, exec_lo, s31
                                        ; implicit-def: $vgpr38
                                        ; implicit-def: $vgpr41
                                        ; implicit-def: $vgpr5
.LBB3_19:
	s_and_not1_saveexec_b32 s20, s27
	s_cbranch_execz .LBB3_21
; %bb.20:
	v_dual_mov_b32 v64, v27 :: v_dual_add_nc_u32 v7, s34, v5
	v_dual_mov_b32 v61, v8 :: v_dual_mov_b32 v60, v28
	s_delay_alu instid0(VALU_DEP_2)
	v_dual_mov_b32 v63, v9 :: v_dual_add_nc_u32 v11, s34, v7
	s_clause 0x1
	global_load_b32 v47, v5, s[8:9] scale_offset
	global_load_b32 v43, v11, s[8:9] scale_offset
	s_wait_xcnt 0x1
	v_add_nc_u32_e32 v5, s34, v11
	s_clause 0x1
	global_load_b32 v45, v7, s[8:9] scale_offset
	global_load_b32 v48, v5, s[8:9] scale_offset
	s_wait_xcnt 0x0
	v_dual_mov_b32 v62, v29 :: v_dual_add_nc_u32 v5, s34, v5
	v_mov_b32_e32 v65, v24
	global_load_b32 v46, v5, s[8:9] scale_offset
	s_wait_loadcnt 0x3
	s_wait_xcnt 0x0
	v_div_scale_f32 v5, null, v47, v47, v43
	v_div_scale_f32 v39, vcc_lo, v43, v47, v43
	s_wait_loadcnt 0x2
	v_div_scale_f32 v7, null, v47, v47, v45
	s_delay_alu instid0(VALU_DEP_3) | instskip(SKIP_2) | instid1(VALU_DEP_2)
	v_rcp_f32_e32 v11, v5
	s_wait_loadcnt 0x1
	v_div_scale_f32 v13, null, v47, v47, v48
	v_rcp_f32_e32 v15, v7
	v_div_scale_f32 v26, s0, v45, v47, v45
	s_delay_alu instid0(VALU_DEP_2) | instskip(NEXT) | instid1(TRANS32_DEP_3)
	v_rcp_f32_e32 v19, v13
	v_fma_f32 v22, -v5, v11, 1.0
	v_sub_f32_e32 v67, v10, v48
	s_delay_alu instid0(TRANS32_DEP_2) | instskip(NEXT) | instid1(VALU_DEP_3)
	v_fma_f32 v32, -v7, v15, 1.0
	v_fmac_f32_e32 v11, v22, v11
	s_delay_alu instid0(TRANS32_DEP_1) | instskip(NEXT) | instid1(VALU_DEP_3)
	v_fma_f32 v22, -v13, v19, 1.0
	v_fmac_f32_e32 v15, v32, v15
	v_div_scale_f32 v32, s1, v48, v47, v48
	s_delay_alu instid0(VALU_DEP_3) | instskip(NEXT) | instid1(VALU_DEP_3)
	v_fmac_f32_e32 v19, v22, v19
	v_mul_f32_e32 v22, v26, v15
	s_delay_alu instid0(VALU_DEP_1) | instskip(SKIP_1) | instid1(VALU_DEP_1)
	v_fma_f32 v50, -v7, v22, v26
	v_mul_f32_e32 v42, v39, v11
	v_fma_f32 v44, -v5, v42, v39
	s_delay_alu instid0(VALU_DEP_1) | instskip(NEXT) | instid1(VALU_DEP_1)
	v_fmac_f32_e32 v42, v44, v11
	v_dual_mul_f32 v49, v32, v19 :: v_dual_fma_f32 v5, -v5, v42, v39
	s_delay_alu instid0(VALU_DEP_1) | instskip(SKIP_1) | instid1(VALU_DEP_3)
	v_dual_fma_f32 v44, -v13, v49, v32 :: v_dual_fmac_f32 v22, v50, v15
	v_mov_b32_e32 v39, v41
	v_div_fmas_f32 v5, v5, v11, v42
	s_mov_b32 vcc_lo, s0
	s_delay_alu instid0(VALU_DEP_3) | instskip(NEXT) | instid1(VALU_DEP_3)
	v_dual_fma_f32 v7, -v7, v22, v26 :: v_dual_fmac_f32 v49, v44, v19
	v_pk_mul_f32 v[58:59], v[38:39], v[38:39]
	s_delay_alu instid0(VALU_DEP_3) | instskip(NEXT) | instid1(VALU_DEP_3)
	v_div_fixup_f32 v5, v5, v47, v43
	v_div_fmas_f32 v7, v7, v15, v22
	s_delay_alu instid0(VALU_DEP_4) | instskip(SKIP_1) | instid1(VALU_DEP_2)
	v_fma_f32 v11, -v13, v49, v32
	s_mov_b32 vcc_lo, s1
	v_div_fixup_f32 v50, v7, v47, v45
	s_delay_alu instid0(VALU_DEP_2) | instskip(SKIP_1) | instid1(VALU_DEP_2)
	v_div_fmas_f32 v11, v11, v19, v49
	v_mov_b32_e32 v49, 0x3ecccccc
	v_div_fixup_f32 v51, v11, v47, v48
	v_mul_f32_e32 v11, 0.5, v47
	s_delay_alu instid0(VALU_DEP_2) | instskip(NEXT) | instid1(VALU_DEP_1)
	v_pk_mul_f32 v[52:53], v[50:51], v[50:51]
	v_dual_mov_b32 v54, v51 :: v_dual_fma_f32 v7, v5, v5, v52
	s_delay_alu instid0(VALU_DEP_1) | instskip(SKIP_1) | instid1(VALU_DEP_1)
	v_add_f32_e32 v7, v7, v53
	s_wait_loadcnt 0x0
	v_fma_f32 v55, -v11, v7, v46
	s_delay_alu instid0(VALU_DEP_1) | instskip(NEXT) | instid1(VALU_DEP_1)
	v_pk_mul_f32 v[52:53], v[48:49], v[54:55]
	v_mul_f32_e32 v11, 0x3fb33333, v53
	v_fma_f32 v52, v45, v50, v53
	s_delay_alu instid0(VALU_DEP_2) | instskip(SKIP_1) | instid1(VALU_DEP_2)
	v_div_scale_f32 v13, null, v47, v47, v11
	v_div_scale_f32 v22, vcc_lo, v11, v47, v11
	v_rcp_f32_e32 v15, v13
	v_nop
	s_delay_alu instid0(TRANS32_DEP_1) | instskip(NEXT) | instid1(VALU_DEP_1)
	v_fma_f32 v19, -v13, v15, 1.0
	v_fmac_f32_e32 v15, v19, v15
	s_delay_alu instid0(VALU_DEP_1) | instskip(NEXT) | instid1(VALU_DEP_1)
	v_mul_f32_e32 v19, v22, v15
	v_fma_f32 v26, -v13, v19, v22
	s_delay_alu instid0(VALU_DEP_1) | instskip(SKIP_1) | instid1(VALU_DEP_2)
	v_dual_fmac_f32 v19, v26, v15 :: v_dual_fma_f32 v26, v40, v40, v58
	v_mov_b32_e32 v58, v41
	v_fma_f32 v13, -v13, v19, v22
	s_delay_alu instid0(VALU_DEP_3) | instskip(SKIP_1) | instid1(VALU_DEP_3)
	v_add_f32_e32 v22, v26, v59
	v_dual_mul_f32 v26, 0x4f800000, v7 :: v_dual_mov_b32 v59, v40
	v_div_fmas_f32 v13, v13, v15, v19
	v_cmp_gt_f32_e32 vcc_lo, 0xf800000, v7
	s_delay_alu instid0(VALU_DEP_4) | instskip(NEXT) | instid1(VALU_DEP_4)
	v_cmp_gt_f32_e64 s0, 0xf800000, v22
	v_pk_mul_f32 v[58:59], v[58:59], 0.5 op_sel_hi:[1,0]
	v_cndmask_b32_e32 v7, v7, v26, vcc_lo
	s_delay_alu instid0(VALU_DEP_1) | instskip(SKIP_1) | instid1(TRANS32_DEP_1)
	v_sqrt_f32_e32 v15, v7
	v_nop
	v_add_nc_u32_e32 v26, 1, v15
	v_div_fixup_f32 v11, v13, v47, v11
	v_mul_f32_e32 v13, 0x4f800000, v22
	s_delay_alu instid0(VALU_DEP_3) | instskip(NEXT) | instid1(VALU_DEP_3)
	v_fma_f32 v41, -v26, v15, v7
	v_mul_f32_e32 v19, 0x4f800000, v11
	s_delay_alu instid0(VALU_DEP_3) | instskip(SKIP_2) | instid1(VALU_DEP_2)
	v_cndmask_b32_e64 v22, v22, v13, s0
	v_cmp_gt_f32_e64 s1, 0xf800000, v11
	v_add_nc_u32_e32 v13, -1, v15
	v_cndmask_b32_e64 v11, v11, v19, s1
	s_delay_alu instid0(VALU_DEP_4) | instskip(NEXT) | instid1(VALU_DEP_2)
	v_sqrt_f32_e32 v19, v22
	v_fma_f32 v32, -v13, v15, v7
	s_delay_alu instid0(VALU_DEP_2) | instskip(NEXT) | instid1(VALU_DEP_1)
	v_sqrt_f32_e32 v39, v11
	v_cmp_ge_f32_e64 s2, 0, v32
	s_delay_alu instid0(TRANS32_DEP_2) | instid1(VALU_DEP_1)
	v_dual_add_nc_u32 v40, -1, v19 :: v_dual_cndmask_b32 v13, v15, v13, s2
	s_delay_alu instid0(VALU_DEP_1) | instskip(SKIP_1) | instid1(TRANS32_DEP_1)
	v_fma_f32 v32, -v40, v19, v22
	v_cmp_lt_f32_e64 s2, 0, v41
	v_add_nc_u32_e32 v15, -1, v39
	v_add_nc_u32_e32 v41, 1, v19
	s_delay_alu instid0(VALU_DEP_3) | instskip(NEXT) | instid1(VALU_DEP_3)
	v_dual_add_nc_u32 v42, 1, v39 :: v_dual_cndmask_b32 v13, v13, v26, s2
	v_fma_f32 v26, -v15, v39, v11
	v_cmp_ge_f32_e64 s2, 0, v32
	s_delay_alu instid0(VALU_DEP_1) | instskip(NEXT) | instid1(VALU_DEP_3)
	v_dual_cndmask_b32 v32, v19, v40, s2 :: v_dual_fma_f32 v19, -v41, v19, v22
	v_cmp_ge_f32_e64 s2, 0, v26
	s_delay_alu instid0(VALU_DEP_1) | instskip(NEXT) | instid1(VALU_DEP_3)
	v_dual_mov_b32 v40, 0.5 :: v_dual_cndmask_b32 v15, v39, v15, s2
	v_cmp_lt_f32_e64 s2, 0, v19
	s_delay_alu instid0(VALU_DEP_1) | instskip(SKIP_1) | instid1(VALU_DEP_2)
	v_dual_fma_f32 v39, -v42, v39, v11 :: v_dual_cndmask_b32 v19, v32, v41, s2
	v_mul_f32_e32 v26, 0x37800000, v13
	v_mul_f32_e32 v32, 0x37800000, v19
	s_delay_alu instid0(VALU_DEP_2) | instskip(NEXT) | instid1(VALU_DEP_4)
	v_dual_cndmask_b32 v26, v13, v26 :: v_dual_mov_b32 v13, v23
	v_cmp_lt_f32_e32 vcc_lo, 0, v39
	v_cndmask_b32_e32 v15, v15, v42, vcc_lo
	v_cmp_class_f32_e64 vcc_lo, v7, 0x260
	s_delay_alu instid0(VALU_DEP_4) | instskip(NEXT) | instid1(VALU_DEP_3)
	v_cndmask_b32_e32 v7, v26, v7, vcc_lo
	v_mul_f32_e32 v26, 0x37800000, v15
	v_cndmask_b32_e64 v19, v19, v32, s0
	v_cmp_class_f32_e64 vcc_lo, v22, 0x260
	s_delay_alu instid0(VALU_DEP_3) | instskip(NEXT) | instid1(VALU_DEP_3)
	v_dual_add_f32 v7, v56, v7 :: v_dual_cndmask_b32 v15, v15, v26, s1
	v_cndmask_b32_e32 v19, v19, v22, vcc_lo
	v_cmp_class_f32_e64 vcc_lo, v11, 0x260
	s_delay_alu instid0(VALU_DEP_3) | instskip(SKIP_1) | instid1(VALU_DEP_4)
	v_add_f32_e32 v7, v25, v7
	v_mov_b32_e32 v22, v53
	v_dual_mul_f32 v26, 0xbe4ccccd, v19 :: v_dual_mov_b32 v19, v17
	v_cndmask_b32_e32 v11, v15, v11, vcc_lo
	s_delay_alu instid0(VALU_DEP_3) | instskip(SKIP_1) | instid1(VALU_DEP_3)
	v_pk_fma_f32 v[54:55], v[48:49], v[54:55], v[22:23]
	v_dual_mul_f32 v55, v48, v5 :: v_dual_fma_f32 v49, v43, v5, v53
	v_dual_mul_f32 v39, 0.5, v26 :: v_dual_add_f32 v41, v7, v11
	v_add_f32_e32 v7, v46, v53
	v_dual_fma_f32 v66, v50, v48, v16 :: v_dual_mul_f32 v53, v43, v50
	v_pk_add_f32 v[46:47], v[12:13], v[46:47] neg_lo:[0,1] neg_hi:[0,1]
	s_delay_alu instid0(VALU_DEP_4) | instskip(NEXT) | instid1(VALU_DEP_4)
	v_pk_mul_f32 v[38:39], v[38:39], v[40:41]
	v_dual_mul_f32 v42, v5, v7 :: v_dual_mul_f32 v44, v50, v7
	s_delay_alu instid0(VALU_DEP_4) | instskip(SKIP_1) | instid1(VALU_DEP_3)
	v_dual_mov_b32 v41, v48 :: v_dual_mov_b32 v48, v53
	v_mul_f32_e32 v40, v51, v7
	v_pk_add_f32 v[62:63], v[62:63], v[42:43]
	v_mov_b32_e32 v42, v45
	v_pk_add_f32 v[44:45], v[60:61], v[44:45]
	v_pk_mul_f32 v[60:61], v[38:39], v[66:67]
	v_pk_add_f32 v[52:53], v[20:21], v[52:53]
	v_pk_fma_f32 v[36:37], v[46:47], v[38:39], v[36:37] op_sel:[0,1,0]
	v_pk_add_f32 v[42:43], v[8:9], v[42:43] neg_lo:[0,1] neg_hi:[0,1]
	s_delay_alu instid0(VALU_DEP_4) | instskip(SKIP_1) | instid1(VALU_DEP_4)
	v_dual_mov_b32 v15, v10 :: v_dual_add_f32 v5, v33, v61
	v_pk_add_f32 v[32:33], v[18:19], v[54:55]
	v_pk_fma_f32 v[36:37], v[38:39], v[44:45], v[36:37] op_sel_hi:[0,1,1]
	s_delay_alu instid0(VALU_DEP_4) | instskip(SKIP_3) | instid1(VALU_DEP_4)
	v_pk_fma_f32 v[34:35], v[42:43], v[38:39], v[34:35] op_sel:[0,1,0]
	v_pk_add_f32 v[42:43], v[64:65], v[48:49]
	v_pk_add_f32 v[40:41], v[14:15], v[40:41]
	v_dual_mov_b32 v67, v33 :: v_dual_add_f32 v5, v60, v5
	v_pk_fma_f32 v[34:35], v[38:39], v[52:53], v[34:35] op_sel_hi:[0,1,1]
	v_pk_mul_f32 v[38:39], v[58:59], v[32:33]
	v_pk_fma_f32 v[36:37], v[58:59], v[62:63], v[36:37] op_sel:[1,0,0]
	s_delay_alu instid0(VALU_DEP_3) | instskip(NEXT) | instid1(VALU_DEP_3)
	v_pk_fma_f32 v[34:35], v[58:59], v[42:43], v[34:35] op_sel:[1,0,0]
	v_add_f32_e32 v5, v39, v5
	s_delay_alu instid0(VALU_DEP_3) | instskip(NEXT) | instid1(VALU_DEP_3)
	v_pk_fma_f32 v[36:37], v[58:59], v[40:41], v[36:37] op_sel_hi:[0,1,1]
	v_pk_fma_f32 v[34:35], v[58:59], v[66:67], v[34:35] op_sel_hi:[0,1,1]
	s_delay_alu instid0(VALU_DEP_3)
	v_add_f32_e32 v33, v38, v5
.LBB3_21:
	s_or_b32 exec_lo, exec_lo, s20
	v_mad_u32 v5, s34, -7, v3
	s_mov_b32 s0, exec_lo
	s_delay_alu instid0(VALU_DEP_1) | instskip(NEXT) | instid1(VALU_DEP_1)
	v_add_nc_u32_e32 v11, s23, v5
	v_add_nc_u32_e32 v3, s23, v11
	global_load_b32 v7, v5, s[4:5] scale_offset
	s_wait_loadcnt 0x2
	s_clause 0x2
	global_load_b32 v40, v5, s[6:7] scale_offset
	global_load_b32 v38, v11, s[6:7] scale_offset
	;; [unrolled: 1-line block ×3, first 2 shown]
	s_wait_xcnt 0x2
	v_ashrrev_i32_e32 v5, 31, v4
	s_wait_loadcnt 0x3
	s_wait_xcnt 0x0
	v_cmpx_gt_i32_e32 0, v7
	s_xor_b32 s27, exec_lo, s0
	s_cbranch_execz .LBB3_29
; %bb.22:
	s_mov_b32 s0, exec_lo
	v_cmpx_lt_i32_e32 -2, v7
	s_xor_b32 s0, exec_lo, s0
	s_cbranch_execz .LBB3_24
; %bb.23:
	s_wait_loadcnt 0x1
	v_mov_b32_e32 v41, v38
	s_wait_loadcnt 0x0
	v_fmac_f32_e32 v33, v30, v39
                                        ; implicit-def: $vgpr7
                                        ; implicit-def: $vgpr38
	s_delay_alu instid0(VALU_DEP_2)
	v_pk_fma_f32 v[34:35], v[30:31], v[40:41], v[34:35] op_sel_hi:[0,1,1]
                                        ; implicit-def: $vgpr40
.LBB3_24:
	s_and_not1_saveexec_b32 s31, s0
	s_cbranch_execz .LBB3_28
; %bb.25:
	s_mov_b32 s33, exec_lo
	v_cmpx_eq_u32_e32 -2, v7
	s_cbranch_execz .LBB3_27
; %bb.26:
	s_load_b96 s[24:26], s[44:45], 0x0
	s_load_b96 s[20:22], s[14:15], 0x0
	;; [unrolled: 1-line block ×5, first 2 shown]
	s_wait_loadcnt 0x2
	v_dual_mul_f32 v22, 0.5, v40 :: v_dual_mov_b32 v40, v28
	v_dual_mov_b32 v41, v8 :: v_dual_mov_b32 v42, v29
	v_dual_mov_b32 v43, v9 :: v_dual_mov_b32 v15, v10
	;; [unrolled: 1-line block ×3, first 2 shown]
	s_wait_loadcnt 0x0
	v_pk_mul_f32 v[38:39], v[38:39], 0.5 op_sel_hi:[1,0]
	v_dual_mov_b32 v44, v27 :: v_dual_mov_b32 v45, v24
	s_wait_kmcnt 0x0
	v_dual_mov_b32 v48, s25 :: v_dual_mov_b32 v49, s26
	v_dual_add_f32 v7, s24, v16 :: v_dual_mov_b32 v50, s20
	v_dual_mov_b32 v51, s0 :: v_dual_mov_b32 v52, s21
	v_dual_mov_b32 v53, s1 :: v_dual_mov_b32 v54, s28
	v_mov_b32_e32 v55, s36
	s_delay_alu instid0(VALU_DEP_3)
	v_pk_add_f32 v[40:41], v[40:41], v[50:51]
	v_dual_mov_b32 v50, s29 :: v_dual_fmac_f32 v33, v22, v7
	v_mov_b32_e32 v51, s37
	v_pk_add_f32 v[42:43], v[42:43], v[52:53]
	v_pk_add_f32 v[52:53], v[20:21], v[54:55]
	;; [unrolled: 1-line block ×3, first 2 shown]
	v_pk_fma_f32 v[36:37], v[22:23], v[40:41], v[36:37] op_sel_hi:[0,1,1]
	v_dual_mov_b32 v40, s22 :: v_dual_mov_b32 v41, s2
	s_delay_alu instid0(VALU_DEP_4)
	v_pk_fma_f32 v[34:35], v[22:23], v[52:53], v[34:35] op_sel_hi:[0,1,1]
	v_pk_add_f32 v[44:45], v[44:45], v[50:51]
	v_dual_mov_b32 v48, s30 :: v_dual_mov_b32 v49, s38
	v_pk_mul_f32 v[46:47], v[38:39], v[46:47]
	v_pk_fma_f32 v[36:37], v[38:39], v[42:43], v[36:37] op_sel_hi:[0,1,1]
	v_pk_add_f32 v[40:41], v[14:15], v[40:41]
	v_pk_fma_f32 v[34:35], v[38:39], v[44:45], v[34:35] op_sel_hi:[0,1,1]
	v_pk_add_f32 v[42:43], v[16:17], v[48:49]
	v_add_f32_e32 v7, v33, v46
	s_delay_alu instid0(VALU_DEP_4) | instskip(NEXT) | instid1(VALU_DEP_3)
	v_pk_fma_f32 v[36:37], v[38:39], v[40:41], v[36:37] op_sel:[1,0,0]
	v_pk_fma_f32 v[34:35], v[38:39], v[42:43], v[34:35] op_sel:[1,0,0]
	s_delay_alu instid0(VALU_DEP_3)
	v_add_f32_e32 v33, v7, v47
.LBB3_27:
	s_or_b32 exec_lo, exec_lo, s33
.LBB3_28:
	s_delay_alu instid0(SALU_CYCLE_1)
	s_or_b32 exec_lo, exec_lo, s31
                                        ; implicit-def: $vgpr40
                                        ; implicit-def: $vgpr39
                                        ; implicit-def: $vgpr7
.LBB3_29:
	s_and_not1_saveexec_b32 s20, s27
	s_cbranch_execz .LBB3_31
; %bb.30:
	v_add_nc_u32_e32 v11, s34, v7
	s_delay_alu instid0(VALU_DEP_1) | instskip(NEXT) | instid1(VALU_DEP_1)
	v_add_nc_u32_e32 v13, s34, v11
	v_add_nc_u32_e32 v15, s34, v13
	s_clause 0x3
	global_load_b32 v45, v7, s[8:9] scale_offset
	global_load_b32 v42, v11, s[8:9] scale_offset
	;; [unrolled: 1-line block ×4, first 2 shown]
	s_wait_xcnt 0x3
	v_add_nc_u32_e32 v7, s34, v15
	s_wait_loadcnt 0x2
	v_div_scale_f32 v32, s0, v42, v45, v42
	s_wait_loadcnt 0x1
	v_div_scale_f32 v11, null, v45, v45, v22
	s_wait_loadcnt 0x0
	v_div_scale_f32 v13, null, v45, v45, v43
	v_div_scale_f32 v41, s1, v43, v45, v43
	s_delay_alu instid0(VALU_DEP_3) | instskip(NEXT) | instid1(VALU_DEP_2)
	v_rcp_f32_e32 v15, v11
	v_rcp_f32_e32 v26, v13
	v_div_scale_f32 v49, vcc_lo, v22, v45, v22
	v_dual_mov_b32 v65, v22 :: v_dual_mov_b32 v61, v42
	s_delay_alu instid0(TRANS32_DEP_2) | instskip(NEXT) | instid1(TRANS32_DEP_1)
	v_fma_f32 v46, -v11, v15, 1.0
	v_fma_f32 v48, -v13, v26, 1.0
	s_delay_alu instid0(VALU_DEP_2) | instskip(SKIP_4) | instid1(VALU_DEP_2)
	v_fmac_f32_e32 v15, v46, v15
	global_load_b32 v44, v7, s[8:9] scale_offset
	s_wait_xcnt 0x0
	v_div_scale_f32 v7, null, v45, v45, v42
	v_fmac_f32_e32 v26, v48, v26
	v_rcp_f32_e32 v19, v7
	s_delay_alu instid0(VALU_DEP_1) | instskip(NEXT) | instid1(TRANS32_DEP_1)
	v_mul_f32_e32 v48, v41, v26
	v_fma_f32 v47, -v7, v19, 1.0
	s_delay_alu instid0(VALU_DEP_2) | instskip(SKIP_1) | instid1(VALU_DEP_2)
	v_fma_f32 v52, -v13, v48, v41
	v_mul_f32_e32 v46, v49, v15
	v_dual_fmac_f32 v19, v47, v19 :: v_dual_fmac_f32 v48, v52, v26
	s_delay_alu instid0(VALU_DEP_2) | instskip(NEXT) | instid1(VALU_DEP_2)
	v_fma_f32 v50, -v11, v46, v49
	v_dual_mov_b32 v52, v43 :: v_dual_mul_f32 v47, v32, v19
	s_delay_alu instid0(VALU_DEP_2) | instskip(SKIP_1) | instid1(VALU_DEP_3)
	v_dual_fma_f32 v13, -v13, v48, v41 :: v_dual_fmac_f32 v46, v50, v15
	v_mov_b32_e32 v41, v39
	v_fma_f32 v51, -v7, v47, v32
	s_delay_alu instid0(VALU_DEP_3) | instskip(NEXT) | instid1(VALU_DEP_3)
	v_fma_f32 v11, -v11, v46, v49
	v_pk_mul_f32 v[54:55], v[40:41], v[40:41]
	s_delay_alu instid0(VALU_DEP_3) | instskip(SKIP_1) | instid1(VALU_DEP_4)
	v_fmac_f32_e32 v47, v51, v19
	v_mov_b32_e32 v51, 0x3ecccccc
	v_div_fmas_f32 v11, v11, v15, v46
	s_mov_b32 vcc_lo, s0
	s_delay_alu instid0(VALU_DEP_3) | instskip(NEXT) | instid1(VALU_DEP_2)
	v_fma_f32 v7, -v7, v47, v32
	v_div_fixup_f32 v11, v11, v45, v22
	s_delay_alu instid0(VALU_DEP_2) | instskip(SKIP_2) | instid1(VALU_DEP_2)
	v_div_fmas_f32 v7, v7, v19, v47
	s_mov_b32 vcc_lo, s1
	v_div_fmas_f32 v13, v13, v26, v48
	v_div_fixup_f32 v46, v7, v45, v42
	s_delay_alu instid0(VALU_DEP_2) | instskip(NEXT) | instid1(VALU_DEP_2)
	v_div_fixup_f32 v47, v13, v45, v43
	v_mul_f32_e32 v63, v43, v46
	s_delay_alu instid0(VALU_DEP_2) | instskip(NEXT) | instid1(VALU_DEP_1)
	v_pk_mul_f32 v[48:49], v[46:47], v[46:47]
	v_add_f32_e32 v7, v48, v49
	s_delay_alu instid0(VALU_DEP_1) | instskip(SKIP_1) | instid1(VALU_DEP_1)
	v_dual_mul_f32 v13, 0.5, v45 :: v_dual_fmac_f32 v7, v11, v11
	s_wait_loadcnt 0x0
	v_dual_mov_b32 v50, v47 :: v_dual_fma_f32 v53, -v13, v7, v44
	s_delay_alu instid0(VALU_DEP_1) | instskip(NEXT) | instid1(VALU_DEP_1)
	v_pk_mul_f32 v[48:49], v[52:53], v[50:51]
	v_mul_f32_e32 v13, 0x3fb33333, v49
	v_fma_f32 v62, v42, v46, v49
	s_delay_alu instid0(VALU_DEP_2) | instskip(NEXT) | instid1(VALU_DEP_1)
	v_div_scale_f32 v15, null, v45, v45, v13
	v_rcp_f32_e32 v19, v15
	v_nop
	s_delay_alu instid0(TRANS32_DEP_1) | instskip(NEXT) | instid1(VALU_DEP_1)
	v_fma_f32 v26, -v15, v19, 1.0
	v_fmac_f32_e32 v19, v26, v19
	v_dual_fma_f32 v26, v38, v38, v54 :: v_dual_mul_f32 v38, 0.5, v38
	s_delay_alu instid0(VALU_DEP_1) | instskip(SKIP_1) | instid1(VALU_DEP_2)
	v_add_f32_e32 v26, v26, v55
	v_div_scale_f32 v32, vcc_lo, v13, v45, v13
	v_mul_f32_e32 v55, 0x4f800000, v26
	s_delay_alu instid0(VALU_DEP_2) | instskip(SKIP_1) | instid1(VALU_DEP_2)
	v_mul_f32_e32 v41, v32, v19
	v_cmp_gt_f32_e64 s0, 0xf800000, v26
	v_fma_f32 v54, -v15, v41, v32
	s_delay_alu instid0(VALU_DEP_1) | instskip(NEXT) | instid1(VALU_DEP_1)
	v_fmac_f32_e32 v41, v54, v19
	v_fma_f32 v15, -v15, v41, v32
	v_mul_f32_e32 v32, 0x4f800000, v7
	v_cndmask_b32_e64 v54, v26, v55, s0
	s_delay_alu instid0(VALU_DEP_3) | instskip(SKIP_1) | instid1(VALU_DEP_3)
	v_div_fmas_f32 v15, v15, v19, v41
	v_cmp_gt_f32_e32 vcc_lo, 0xf800000, v7
	v_sqrt_f32_e32 v26, v54
	s_delay_alu instid0(VALU_DEP_2) | instskip(NEXT) | instid1(TRANS32_DEP_1)
	v_div_fixup_f32 v13, v15, v45, v13
	v_dual_cndmask_b32 v7, v7, v32, vcc_lo :: v_dual_add_nc_u32 v19, -1, v26
	s_delay_alu instid0(VALU_DEP_2) | instskip(NEXT) | instid1(VALU_DEP_2)
	v_dual_mul_f32 v41, 0x4f800000, v13 :: v_dual_add_nc_u32 v32, 1, v26
	v_sqrt_f32_e32 v15, v7
	v_cmp_gt_f32_e64 s1, 0xf800000, v13
	s_delay_alu instid0(VALU_DEP_2)
	v_dual_fma_f32 v55, -v19, v26, v54 :: v_dual_fma_f32 v57, -v32, v26, v54
	s_delay_alu instid0(TRANS32_DEP_1) | instid1(VALU_DEP_2)
	v_dual_cndmask_b32 v60, v13, v41, s1 :: v_dual_add_nc_u32 v58, -1, v15
	s_delay_alu instid0(VALU_DEP_2) | instskip(NEXT) | instid1(VALU_DEP_2)
	v_cmp_ge_f32_e64 s2, 0, v55
	v_sqrt_f32_e32 v41, v60
	s_delay_alu instid0(VALU_DEP_1) | instskip(NEXT) | instid1(VALU_DEP_3)
	v_cndmask_b32_e64 v13, v26, v19, s2
	v_dual_add_nc_u32 v19, 1, v15 :: v_dual_fma_f32 v26, -v58, v15, v7
	v_cmp_lt_f32_e64 s2, 0, v57
	s_delay_alu instid0(VALU_DEP_1) | instskip(NEXT) | instid1(VALU_DEP_3)
	v_dual_cndmask_b32 v13, v13, v32, s2 :: v_dual_fma_f32 v32, -v19, v15, v7
	v_cmp_ge_f32_e64 s2, 0, v26
	s_delay_alu instid0(VALU_DEP_2) | instskip(NEXT) | instid1(VALU_DEP_2)
	v_dual_mul_f32 v26, 0.5, v40 :: v_dual_mul_f32 v57, 0x37800000, v13
	v_cndmask_b32_e64 v15, v15, v58, s2
	s_delay_alu instid0(VALU_DEP_4) | instskip(SKIP_1) | instid1(VALU_DEP_4)
	v_cmp_lt_f32_e64 s2, 0, v32
	v_add_nc_u32_e32 v55, -1, v41
	v_dual_cndmask_b32 v57, v13, v57, s0 :: v_dual_mov_b32 v13, v23
	s_delay_alu instid0(VALU_DEP_3) | instskip(NEXT) | instid1(VALU_DEP_3)
	v_dual_cndmask_b32 v15, v15, v19, s2 :: v_dual_add_nc_u32 v19, 1, v41
	v_fma_f32 v32, -v55, v41, v60
	s_delay_alu instid0(VALU_DEP_2) | instskip(NEXT) | instid1(VALU_DEP_2)
	v_mul_f32_e32 v40, 0x37800000, v15
	v_cmp_ge_f32_e64 s0, 0, v32
	s_delay_alu instid0(VALU_DEP_4) | instskip(NEXT) | instid1(VALU_DEP_3)
	v_fma_f32 v58, -v19, v41, v60
	v_dual_cndmask_b32 v15, v15, v40 :: v_dual_mov_b32 v40, v28
	s_delay_alu instid0(VALU_DEP_3) | instskip(NEXT) | instid1(VALU_DEP_3)
	v_cndmask_b32_e64 v32, v41, v55, s0
	v_cmp_lt_f32_e32 vcc_lo, 0, v58
	v_pk_fma_f32 v[58:59], v[46:47], v[22:23], v[16:17] op_sel_hi:[1,0,1]
	s_delay_alu instid0(VALU_DEP_3) | instskip(SKIP_1) | instid1(VALU_DEP_1)
	v_dual_mov_b32 v55, v38 :: v_dual_cndmask_b32 v19, v32, v19, vcc_lo
	v_cmp_class_f32_e64 vcc_lo, v7, 0x260
	v_dual_mov_b32 v41, v8 :: v_dual_cndmask_b32 v15, v15, v7, vcc_lo
	v_cmp_class_f32_e64 vcc_lo, v54, 0x260
	v_dual_cndmask_b32 v32, v57, v54 :: v_dual_mov_b32 v7, v48
	v_mul_f32_e32 v48, 0x37800000, v19
	v_mov_b32_e32 v54, v39
	v_cmp_class_f32_e64 vcc_lo, v60, 0x260
	v_add_f32_e32 v39, v44, v49
	v_pk_fma_f32 v[50:51], v[52:53], v[50:51], v[6:7]
	v_dual_add_f32 v7, v56, v15 :: v_dual_mov_b32 v52, 0.5
	v_cndmask_b32_e64 v15, v19, v48, s1
	v_mul_f32_e32 v19, 0xbe4ccccd, v32
	s_delay_alu instid0(VALU_DEP_3) | instskip(SKIP_1) | instid1(VALU_DEP_4)
	v_dual_mov_b32 v53, v59 :: v_dual_add_f32 v7, v25, v7
	v_pk_add_f32 v[44:45], v[12:13], v[44:45] neg_lo:[0,1] neg_hi:[0,1]
	v_dual_cndmask_b32 v15, v15, v60 :: v_dual_mul_f32 v60, v46, v39
	s_delay_alu instid0(VALU_DEP_4) | instskip(NEXT) | instid1(VALU_DEP_4)
	v_mul_f32_e32 v19, 0.5, v19
	v_pk_mul_f32 v[52:53], v[54:55], v[52:53]
	s_delay_alu instid0(VALU_DEP_3) | instskip(SKIP_3) | instid1(VALU_DEP_4)
	v_dual_mov_b32 v55, v9 :: v_dual_add_f32 v7, v7, v15
	v_mov_b32_e32 v54, v29
	v_pk_add_f32 v[40:41], v[40:41], v[60:61]
	v_dual_mov_b32 v60, v49 :: v_dual_mul_f32 v46, v47, v39
	v_dual_mul_f32 v48, v19, v7 :: v_dual_sub_f32 v7, v10, v22
	v_mov_b32_e32 v47, v43
	v_pk_add_f32 v[42:43], v[8:9], v[42:43] neg_lo:[0,1] neg_hi:[0,1]
	v_dual_mul_f32 v32, v22, v11 :: v_dual_mov_b32 v50, v63
	s_delay_alu instid0(VALU_DEP_4)
	v_pk_fma_f32 v[36:37], v[44:45], v[48:49], v[36:37] op_sel_hi:[1,0,1]
	v_dual_mov_b32 v45, v24 :: v_dual_mul_f32 v61, v7, v48
	v_dual_mov_b32 v15, v10 :: v_dual_mov_b32 v44, v27
	v_mul_f32_e32 v19, v26, v58
	v_pk_add_f32 v[62:63], v[20:21], v[62:63]
	v_pk_fma_f32 v[34:35], v[42:43], v[48:49], v[34:35] op_sel_hi:[1,0,1]
	v_pk_add_f32 v[32:33], v[32:33], v[60:61]
	v_mul_f32_e32 v64, v11, v39
	v_pk_add_f32 v[42:43], v[44:45], v[50:51]
	v_pk_fma_f32 v[36:37], v[26:27], v[40:41], v[36:37] op_sel_hi:[0,1,1]
	v_pk_add_f32 v[40:41], v[54:55], v[46:47]
	v_pk_fma_f32 v[34:35], v[26:27], v[62:63], v[34:35] op_sel_hi:[0,1,1]
	v_pk_add_f32 v[32:33], v[18:19], v[32:33]
	s_delay_alu instid0(VALU_DEP_3) | instskip(SKIP_1) | instid1(VALU_DEP_4)
	v_pk_fma_f32 v[36:37], v[38:39], v[40:41], v[36:37] op_sel_hi:[0,1,1]
	v_pk_add_f32 v[40:41], v[14:15], v[64:65]
	v_pk_fma_f32 v[34:35], v[38:39], v[42:43], v[34:35] op_sel_hi:[0,1,1]
	s_delay_alu instid0(VALU_DEP_4) | instskip(NEXT) | instid1(VALU_DEP_3)
	v_add_f32_e32 v33, v53, v33
	v_pk_fma_f32 v[36:37], v[52:53], v[40:41], v[36:37] op_sel_hi:[0,1,1]
	s_delay_alu instid0(VALU_DEP_3) | instskip(NEXT) | instid1(VALU_DEP_3)
	v_pk_fma_f32 v[34:35], v[52:53], v[58:59], v[34:35] op_sel_hi:[0,1,1]
	v_fmac_f32_e32 v33, v52, v32
.LBB3_31:
	s_or_b32 exec_lo, exec_lo, s20
	s_wait_loadcnt 0x0
	v_lshlrev_b64_e32 v[38:39], 2, v[4:5]
	v_add_nc_u32_e32 v3, s3, v3
	s_mov_b32 s0, exec_lo
	s_delay_alu instid0(VALU_DEP_1) | instskip(NEXT) | instid1(VALU_DEP_3)
	v_add_nc_u32_e32 v7, s23, v3
	v_add_nc_u64_e32 v[40:41], s[4:5], v[38:39]
	v_add_nc_u64_e32 v[42:43], s[6:7], v[38:39]
	global_load_b32 v11, v[40:41], off
	s_clause 0x2
	global_load_b32 v40, v[42:43], off
	global_load_b32 v38, v3, s[6:7] scale_offset
	global_load_b32 v39, v7, s[6:7] scale_offset
	s_wait_xcnt 0x1
	v_ashrrev_i32_e32 v3, 31, v2
	s_wait_xcnt 0x0
	v_ashrrev_i32_e32 v7, 31, v6
	s_wait_loadcnt 0x3
	v_cmpx_gt_i32_e32 0, v11
	s_xor_b32 s3, exec_lo, s0
	s_cbranch_execz .LBB3_39
; %bb.32:
	s_mov_b32 s0, exec_lo
	v_cmpx_lt_i32_e32 -2, v11
	s_xor_b32 s0, exec_lo, s0
	s_cbranch_execz .LBB3_34
; %bb.33:
	s_wait_loadcnt 0x1
	v_mov_b32_e32 v41, v38
	s_wait_loadcnt 0x0
	v_fmac_f32_e32 v33, v30, v39
                                        ; implicit-def: $vgpr8
                                        ; implicit-def: $vgpr10
                                        ; implicit-def: $vgpr26_vgpr27
                                        ; implicit-def: $vgpr24
                                        ; implicit-def: $vgpr16_vgpr17
                                        ; implicit-def: $vgpr18
                                        ; implicit-def: $vgpr28_vgpr29
                                        ; implicit-def: $vgpr14
                                        ; implicit-def: $vgpr11
                                        ; implicit-def: $vgpr38
                                        ; implicit-def: $vgpr20_vgpr21
	s_delay_alu instid0(VALU_DEP_2)
	v_pk_fma_f32 v[34:35], v[30:31], v[40:41], v[34:35] op_sel_hi:[0,1,1]
                                        ; implicit-def: $vgpr40
.LBB3_34:
	s_and_not1_saveexec_b32 s7, s0
	s_cbranch_execz .LBB3_38
; %bb.35:
	s_mov_b32 s23, exec_lo
	v_cmpx_eq_u32_e32 -2, v11
	s_cbranch_execz .LBB3_37
; %bb.36:
	s_load_b96 s[20:22], s[44:45], 0x0
	s_load_b96 s[4:6], s[14:15], 0x0
	;; [unrolled: 1-line block ×5, first 2 shown]
	s_wait_loadcnt 0x2
	v_dual_mul_f32 v12, 0.5, v40 :: v_dual_mov_b32 v30, v28
	s_wait_loadcnt 0x0
	v_pk_mul_f32 v[22:23], v[38:39], 0.5 op_sel_hi:[1,0]
	v_dual_mov_b32 v31, v8 :: v_dual_mov_b32 v8, v29
	v_dual_mov_b32 v15, v10 :: v_dual_mov_b32 v10, v27
	;; [unrolled: 1-line block ×3, first 2 shown]
	s_wait_kmcnt 0x0
	v_dual_mov_b32 v25, v18 :: v_dual_mov_b32 v18, s21
	v_dual_mov_b32 v19, s22 :: v_dual_add_f32 v13, s20, v16
	v_dual_mov_b32 v26, s4 :: v_dual_mov_b32 v27, s0
	v_dual_mov_b32 v38, s24 :: v_dual_mov_b32 v39, s28
	v_dual_mov_b32 v28, s5 :: v_dual_mov_b32 v29, s1
	v_dual_mov_b32 v40, s25 :: v_dual_mov_b32 v41, s29
	s_delay_alu instid0(VALU_DEP_4) | instskip(NEXT) | instid1(VALU_DEP_4)
	v_pk_add_f32 v[26:27], v[30:31], v[26:27]
	v_pk_add_f32 v[20:21], v[20:21], v[38:39]
	;; [unrolled: 1-line block ×3, first 2 shown]
	v_fmac_f32_e32 v33, v12, v13
	v_pk_add_f32 v[8:9], v[8:9], v[28:29]
	v_pk_fma_f32 v[26:27], v[12:13], v[26:27], v[36:37] op_sel_hi:[0,1,1]
	v_dual_mov_b32 v28, s6 :: v_dual_mov_b32 v29, s2
	v_pk_fma_f32 v[12:13], v[12:13], v[20:21], v[34:35] op_sel_hi:[0,1,1]
	v_pk_add_f32 v[10:11], v[10:11], v[40:41]
	v_mov_b32_e32 v20, s26
	v_pk_mul_f32 v[18:19], v[22:23], v[18:19]
	v_mov_b32_e32 v21, s30
	v_pk_fma_f32 v[8:9], v[22:23], v[8:9], v[26:27] op_sel_hi:[0,1,1]
	v_pk_add_f32 v[14:15], v[14:15], v[28:29]
	v_pk_fma_f32 v[10:11], v[22:23], v[10:11], v[12:13] op_sel_hi:[0,1,1]
	s_delay_alu instid0(VALU_DEP_4) | instskip(SKIP_1) | instid1(VALU_DEP_4)
	v_pk_add_f32 v[12:13], v[16:17], v[20:21]
	v_add_f32_e32 v16, v33, v18
	v_pk_fma_f32 v[36:37], v[22:23], v[14:15], v[8:9] op_sel:[1,0,0]
	s_delay_alu instid0(VALU_DEP_3) | instskip(NEXT) | instid1(VALU_DEP_3)
	v_pk_fma_f32 v[34:35], v[22:23], v[12:13], v[10:11] op_sel:[1,0,0]
	v_add_f32_e32 v33, v16, v19
.LBB3_37:
	s_or_b32 exec_lo, exec_lo, s23
.LBB3_38:
	s_delay_alu instid0(SALU_CYCLE_1)
	s_or_b32 exec_lo, exec_lo, s7
                                        ; implicit-def: $vgpr23
                                        ; implicit-def: $vgpr8
                                        ; implicit-def: $vgpr10
                                        ; implicit-def: $vgpr12
                                        ; implicit-def: $vgpr56
                                        ; implicit-def: $vgpr25
                                        ; implicit-def: $vgpr26_vgpr27
                                        ; implicit-def: $vgpr24
                                        ; implicit-def: $vgpr16_vgpr17
                                        ; implicit-def: $vgpr18
                                        ; implicit-def: $vgpr28_vgpr29
                                        ; implicit-def: $vgpr14
                                        ; implicit-def: $vgpr11
                                        ; implicit-def: $vgpr40
                                        ; implicit-def: $vgpr38
                                        ; implicit-def: $vgpr20_vgpr21
.LBB3_39:
	s_and_not1_saveexec_b32 s3, s3
	s_cbranch_execz .LBB3_41
; %bb.40:
	v_add_nc_u32_e32 v13, s34, v11
	s_delay_alu instid0(VALU_DEP_1) | instskip(NEXT) | instid1(VALU_DEP_1)
	v_add_nc_u32_e32 v15, s34, v13
	v_add_nc_u32_e32 v19, s34, v15
	s_clause 0x3
	global_load_b32 v31, v11, s[8:9] scale_offset
	global_load_b32 v42, v13, s[8:9] scale_offset
	;; [unrolled: 1-line block ×4, first 2 shown]
	s_wait_loadcnt 0x2
	v_div_scale_f32 v41, s0, v42, v31, v42
	s_wait_loadcnt 0x0
	v_div_scale_f32 v15, null, v31, v31, v43
	v_div_scale_f32 v13, null, v31, v31, v22
	v_div_scale_f32 v44, s1, v43, v31, v43
	s_delay_alu instid0(VALU_DEP_3) | instskip(SKIP_2) | instid1(TRANS32_DEP_1)
	v_rcp_f32_e32 v32, v15
	v_div_scale_f32 v48, vcc_lo, v22, v31, v22
	v_sub_f32_e32 v64, v10, v22
	v_fma_f32 v47, -v15, v32, 1.0
	s_delay_alu instid0(VALU_DEP_1) | instskip(SKIP_1) | instid1(VALU_DEP_1)
	v_dual_fmac_f32 v32, v47, v32 :: v_dual_add_nc_u32 v11, s34, v19
	v_rcp_f32_e32 v19, v13
	v_mul_f32_e32 v47, v44, v32
	global_load_b32 v30, v11, s[8:9] scale_offset
	s_wait_xcnt 0x0
	v_div_scale_f32 v11, null, v31, v31, v42
	v_fma_f32 v45, -v13, v19, 1.0
	s_delay_alu instid0(VALU_DEP_2) | instskip(NEXT) | instid1(VALU_DEP_1)
	v_rcp_f32_e32 v26, v11
	v_fmac_f32_e32 v19, v45, v19
	s_delay_alu instid0(TRANS32_DEP_1) | instskip(NEXT) | instid1(VALU_DEP_1)
	v_fma_f32 v46, -v11, v26, 1.0
	v_dual_fmac_f32 v26, v46, v26 :: v_dual_mul_f32 v45, v48, v19
	s_delay_alu instid0(VALU_DEP_1) | instskip(NEXT) | instid1(VALU_DEP_1)
	v_mul_f32_e32 v46, v41, v26
	v_dual_fma_f32 v49, -v13, v45, v48 :: v_dual_fma_f32 v50, -v11, v46, v41
	s_delay_alu instid0(VALU_DEP_1) | instskip(NEXT) | instid1(VALU_DEP_1)
	v_dual_fma_f32 v51, -v15, v47, v44 :: v_dual_fmac_f32 v46, v50, v26
	v_dual_fmac_f32 v45, v49, v19 :: v_dual_fmac_f32 v47, v51, v32
	s_delay_alu instid0(VALU_DEP_1) | instskip(NEXT) | instid1(VALU_DEP_2)
	v_dual_fma_f32 v11, -v11, v46, v41 :: v_dual_fma_f32 v13, -v13, v45, v48
	v_fma_f32 v15, -v15, v47, v44
	v_dual_mov_b32 v41, v39 :: v_dual_mov_b32 v48, v43
	s_delay_alu instid0(VALU_DEP_3) | instskip(SKIP_1) | instid1(VALU_DEP_2)
	v_div_fmas_f32 v13, v13, v19, v45
	s_mov_b32 vcc_lo, s0
	v_pk_mul_f32 v[52:53], v[40:41], v[40:41]
	v_div_fmas_f32 v11, v11, v26, v46
	s_mov_b32 vcc_lo, s1
	v_div_fixup_f32 v62, v13, v31, v22
	v_div_fmas_f32 v15, v15, v32, v47
	v_mul_f32_e32 v40, 0.5, v40
	v_div_fixup_f32 v44, v11, v31, v42
	s_delay_alu instid0(VALU_DEP_3) | instskip(NEXT) | instid1(VALU_DEP_2)
	v_div_fixup_f32 v45, v15, v31, v43
	v_mul_f32_e32 v60, v42, v44
	s_delay_alu instid0(VALU_DEP_2) | instskip(NEXT) | instid1(VALU_DEP_1)
	v_pk_mul_f32 v[46:47], v[44:45], v[44:45]
	v_add_f32_e32 v11, v46, v47
	v_mul_f32_e32 v13, 0.5, v31
	v_dual_mov_b32 v47, 0x3ecccccc :: v_dual_mov_b32 v46, v45
	s_delay_alu instid0(VALU_DEP_3) | instskip(SKIP_1) | instid1(VALU_DEP_1)
	v_fmac_f32_e32 v11, v62, v62
	s_wait_loadcnt 0x0
	v_dual_fma_f32 v49, -v13, v11, v30 :: v_dual_fma_f32 v13, v38, v38, v52
	s_delay_alu instid0(VALU_DEP_1) | instskip(NEXT) | instid1(VALU_DEP_2)
	v_pk_mul_f32 v[50:51], v[48:49], v[46:47]
	v_add_f32_e32 v13, v13, v53
	s_delay_alu instid0(VALU_DEP_2) | instskip(NEXT) | instid1(VALU_DEP_2)
	v_mul_f32_e32 v15, 0x3fb33333, v51
	v_mul_f32_e32 v26, 0x4f800000, v13
	v_cmp_gt_f32_e64 s0, 0xf800000, v13
	s_delay_alu instid0(VALU_DEP_3) | instskip(NEXT) | instid1(VALU_DEP_2)
	v_div_scale_f32 v19, null, v31, v31, v15
	v_cndmask_b32_e64 v41, v13, v26, s0
	s_delay_alu instid0(VALU_DEP_2) | instskip(NEXT) | instid1(VALU_DEP_1)
	v_rcp_f32_e32 v32, v19
	v_sqrt_f32_e32 v52, v41
	s_delay_alu instid0(TRANS32_DEP_2) | instskip(NEXT) | instid1(TRANS32_DEP_1)
	v_fma_f32 v13, -v19, v32, 1.0
	v_add_nc_u32_e32 v54, -1, v52
	s_delay_alu instid0(VALU_DEP_2) | instskip(SKIP_1) | instid1(VALU_DEP_3)
	v_fmac_f32_e32 v32, v13, v32
	v_div_scale_f32 v53, vcc_lo, v15, v31, v15
	v_dual_fma_f32 v26, -v54, v52, v41 :: v_dual_mov_b32 v13, v23
	v_add_nc_u32_e32 v23, 1, v52
	s_delay_alu instid0(VALU_DEP_3) | instskip(NEXT) | instid1(VALU_DEP_3)
	v_mul_f32_e32 v55, v53, v32
	v_cmp_ge_f32_e64 s1, 0, v26
	v_mul_f32_e32 v26, 0.5, v38
	v_pk_add_f32 v[12:13], v[12:13], v[30:31] neg_lo:[0,1] neg_hi:[0,1]
	s_delay_alu instid0(VALU_DEP_4) | instskip(NEXT) | instid1(VALU_DEP_1)
	v_fma_f32 v57, -v19, v55, v53
	v_dual_mul_f32 v58, 0x4f800000, v11 :: v_dual_fmac_f32 v55, v57, v32
	v_dual_cndmask_b32 v38, v52, v54, s1 :: v_dual_fma_f32 v54, -v23, v52, v41
	v_cmp_gt_f32_e64 s1, 0xf800000, v11
	v_dual_mov_b32 v52, v28 :: v_dual_mov_b32 v28, v29
	v_mov_b32_e32 v29, v9
	s_delay_alu instid0(VALU_DEP_4) | instskip(NEXT) | instid1(VALU_DEP_4)
	v_cmp_lt_f32_e64 s2, 0, v54
	v_cndmask_b32_e64 v57, v11, v58, s1
	v_dual_fma_f32 v11, -v19, v55, v53 :: v_dual_mov_b32 v53, v8
	s_delay_alu instid0(VALU_DEP_3) | instskip(NEXT) | instid1(VALU_DEP_3)
	v_dual_mov_b32 v54, v27 :: v_dual_cndmask_b32 v19, v38, v23, s2
	v_sqrt_f32_e32 v23, v57
	s_delay_alu instid0(VALU_DEP_2) | instskip(SKIP_3) | instid1(VALU_DEP_4)
	v_div_fmas_f32 v11, v11, v32, v55
	v_mov_b32_e32 v58, 0.5
	v_pk_add_f32 v[8:9], v[8:9], v[42:43] neg_lo:[0,1] neg_hi:[0,1]
	v_mul_f32_e32 v32, 0x37800000, v19
	v_div_fixup_f32 v11, v11, v31, v15
	s_delay_alu instid0(TRANS32_DEP_1) | instskip(NEXT) | instid1(VALU_DEP_3)
	v_dual_mov_b32 v15, v10 :: v_dual_add_nc_u32 v38, -1, v23
	v_dual_cndmask_b32 v19, v19, v32, s0 :: v_dual_add_nc_u32 v32, 1, v23
	s_delay_alu instid0(VALU_DEP_3) | instskip(SKIP_3) | instid1(VALU_DEP_4)
	v_mul_f32_e32 v27, 0x4f800000, v11
	v_cmp_gt_f32_e32 vcc_lo, 0xf800000, v11
	v_cmp_class_f32_e64 s0, v41, 0x260
	v_fma_f32 v55, -v38, v23, v57
	v_cndmask_b32_e32 v27, v11, v27, vcc_lo
	s_delay_alu instid0(VALU_DEP_3) | instskip(NEXT) | instid1(VALU_DEP_3)
	v_cndmask_b32_e64 v11, v19, v41, s0
	v_cmp_ge_f32_e64 s0, 0, v55
	v_fma_f32 v19, -v32, v23, v57
	v_mov_b32_e32 v55, v24
	v_sqrt_f32_e32 v41, v27
	v_mul_f32_e32 v11, 0xbe4ccccd, v11
	v_cndmask_b32_e64 v23, v23, v38, s0
	v_cmp_lt_f32_e64 s0, 0, v19
	v_dual_mov_b32 v38, v39 :: v_dual_mov_b32 v39, v26
	s_delay_alu instid0(TRANS32_DEP_1) | instid1(VALU_DEP_2)
	v_dual_cndmask_b32 v19, v23, v32, s0 :: v_dual_add_nc_u32 v23, -1, v41
	v_dual_mul_f32 v63, 0.5, v11 :: v_dual_mov_b32 v11, v42
	s_delay_alu instid0(VALU_DEP_2) | instskip(NEXT) | instid1(VALU_DEP_3)
	v_mul_f32_e32 v24, 0x37800000, v19
	v_dual_fma_f32 v10, -v23, v41, v27 :: v_dual_add_nc_u32 v32, 1, v41
	s_delay_alu instid0(VALU_DEP_2) | instskip(NEXT) | instid1(VALU_DEP_2)
	v_cndmask_b32_e64 v19, v19, v24, s1
	v_cmp_ge_f32_e64 s0, 0, v10
	s_delay_alu instid0(VALU_DEP_3) | instskip(NEXT) | instid1(VALU_DEP_2)
	v_dual_fma_f32 v10, -v32, v41, v27 :: v_dual_mov_b32 v24, v51
	v_cndmask_b32_e64 v23, v41, v23, s0
	v_cmp_class_f32_e64 s0, v57, 0x260
	s_delay_alu instid0(VALU_DEP_2) | instskip(NEXT) | instid1(VALU_DEP_2)
	v_pk_fma_f32 v[16:17], v[44:45], v[22:23], v[16:17] op_sel_hi:[1,0,1]
	v_cndmask_b32_e64 v19, v19, v57, s0
	v_cmp_lt_f32_e64 s0, 0, v10
	s_delay_alu instid0(VALU_DEP_1) | instskip(SKIP_1) | instid1(VALU_DEP_4)
	v_dual_mov_b32 v59, v17 :: v_dual_cndmask_b32 v10, v23, v32, s0
	v_dual_mul_f32 v32, v22, v62 :: v_dual_mov_b32 v57, v43
	v_dual_add_f32 v23, v56, v19 :: v_dual_mov_b32 v56, v51
	s_delay_alu instid0(VALU_DEP_3) | instskip(SKIP_2) | instid1(VALU_DEP_4)
	v_mul_f32_e32 v19, 0x37800000, v10
	v_mov_b32_e32 v61, v44
	v_pk_mul_f32 v[38:39], v[38:39], v[58:59]
	v_dual_add_f32 v25, v25, v23 :: v_dual_mov_b32 v23, v50
	s_delay_alu instid0(VALU_DEP_4) | instskip(SKIP_2) | instid1(VALU_DEP_4)
	v_cndmask_b32_e32 v10, v10, v19, vcc_lo
	v_cmp_class_f32_e64 vcc_lo, v27, 0x260
	v_mul_f32_e32 v19, v40, v16
	v_pk_fma_f32 v[46:47], v[48:49], v[46:47], v[22:23]
	v_mov_b32_e32 v49, v22
	v_cndmask_b32_e32 v10, v10, v27, vcc_lo
	v_add_f32_e32 v27, v30, v51
	v_pk_mul_f32 v[50:51], v[56:57], v[60:61]
	v_pk_add_f32 v[30:31], v[56:57], v[60:61]
	s_delay_alu instid0(VALU_DEP_3) | instskip(NEXT) | instid1(VALU_DEP_3)
	v_dual_add_f32 v25, v25, v10 :: v_dual_mul_f32 v10, v44, v27
	v_dual_mov_b32 v31, v51 :: v_dual_mov_b32 v46, v51
	v_dual_mul_f32 v42, v45, v27 :: v_dual_mul_f32 v48, v62, v27
	s_delay_alu instid0(VALU_DEP_3) | instskip(NEXT) | instid1(VALU_DEP_4)
	v_mul_f32_e32 v44, v63, v25
	v_pk_add_f32 v[10:11], v[52:53], v[10:11]
	s_delay_alu instid0(VALU_DEP_4) | instskip(SKIP_1) | instid1(VALU_DEP_4)
	v_pk_add_f32 v[20:21], v[20:21], v[30:31]
	v_pk_add_f32 v[30:31], v[54:55], v[46:47]
	v_mul_f32_e32 v25, v64, v44
	v_pk_fma_f32 v[12:13], v[12:13], v[44:45], v[36:37] op_sel_hi:[1,0,1]
	v_pk_fma_f32 v[8:9], v[8:9], v[44:45], v[34:35] op_sel_hi:[1,0,1]
	s_delay_alu instid0(VALU_DEP_3) | instskip(NEXT) | instid1(VALU_DEP_3)
	v_pk_add_f32 v[24:25], v[32:33], v[24:25]
	v_pk_fma_f32 v[10:11], v[40:41], v[10:11], v[12:13] op_sel_hi:[0,1,1]
	v_pk_add_f32 v[12:13], v[28:29], v[42:43]
	s_delay_alu instid0(VALU_DEP_4) | instskip(NEXT) | instid1(VALU_DEP_4)
	v_pk_fma_f32 v[8:9], v[40:41], v[20:21], v[8:9] op_sel_hi:[0,1,1]
	v_pk_add_f32 v[18:19], v[18:19], v[24:25]
	s_delay_alu instid0(VALU_DEP_3) | instskip(SKIP_1) | instid1(VALU_DEP_4)
	v_pk_fma_f32 v[10:11], v[26:27], v[12:13], v[10:11] op_sel_hi:[0,1,1]
	v_pk_add_f32 v[12:13], v[14:15], v[48:49]
	v_pk_fma_f32 v[8:9], v[26:27], v[30:31], v[8:9] op_sel_hi:[0,1,1]
	s_delay_alu instid0(VALU_DEP_4) | instskip(NEXT) | instid1(VALU_DEP_3)
	v_add_f32_e32 v33, v39, v19
	v_pk_fma_f32 v[36:37], v[38:39], v[12:13], v[10:11] op_sel_hi:[0,1,1]
	s_delay_alu instid0(VALU_DEP_3) | instskip(NEXT) | instid1(VALU_DEP_3)
	v_pk_fma_f32 v[34:35], v[38:39], v[16:17], v[8:9] op_sel_hi:[0,1,1]
	v_fmac_f32_e32 v33, v38, v18
.LBB3_41:
	s_or_b32 exec_lo, exec_lo, s3
	v_lshl_add_u64 v[0:1], v[0:1], 2, s[12:13]
	v_lshl_add_u64 v[2:3], v[2:3], 2, s[12:13]
	;; [unrolled: 1-line block ×4, first 2 shown]
	s_delay_alu instid0(VALU_DEP_4)
	v_lshl_add_u64 v[8:9], s[34:35], 2, v[0:1]
	s_clause 0x4
	global_store_b32 v[0:1], v37, off
	global_store_b32 v[8:9], v34, off
	;; [unrolled: 1-line block ×5, first 2 shown]
.LBB3_42:
	s_sendmsg sendmsg(MSG_DEALLOC_VGPRS)
	s_endpgm
	.section	.rodata,"a",@progbits
	.p2align	6, 0x0
	.amdhsa_kernel _Z12compute_fluxiPiPfS0_S0_S0_P6Float3S2_S2_S2_
		.amdhsa_group_segment_fixed_size 0
		.amdhsa_private_segment_fixed_size 0
		.amdhsa_kernarg_size 336
		.amdhsa_user_sgpr_count 2
		.amdhsa_user_sgpr_dispatch_ptr 0
		.amdhsa_user_sgpr_queue_ptr 0
		.amdhsa_user_sgpr_kernarg_segment_ptr 1
		.amdhsa_user_sgpr_dispatch_id 0
		.amdhsa_user_sgpr_kernarg_preload_length 0
		.amdhsa_user_sgpr_kernarg_preload_offset 0
		.amdhsa_user_sgpr_private_segment_size 0
		.amdhsa_wavefront_size32 1
		.amdhsa_uses_dynamic_stack 0
		.amdhsa_enable_private_segment 0
		.amdhsa_system_sgpr_workgroup_id_x 1
		.amdhsa_system_sgpr_workgroup_id_y 0
		.amdhsa_system_sgpr_workgroup_id_z 0
		.amdhsa_system_sgpr_workgroup_info 0
		.amdhsa_system_vgpr_workitem_id 0
		.amdhsa_next_free_vgpr 68
		.amdhsa_next_free_sgpr 46
		.amdhsa_named_barrier_count 0
		.amdhsa_reserve_vcc 1
		.amdhsa_float_round_mode_32 0
		.amdhsa_float_round_mode_16_64 0
		.amdhsa_float_denorm_mode_32 3
		.amdhsa_float_denorm_mode_16_64 3
		.amdhsa_fp16_overflow 0
		.amdhsa_memory_ordered 1
		.amdhsa_forward_progress 1
		.amdhsa_inst_pref_size 69
		.amdhsa_round_robin_scheduling 0
		.amdhsa_exception_fp_ieee_invalid_op 0
		.amdhsa_exception_fp_denorm_src 0
		.amdhsa_exception_fp_ieee_div_zero 0
		.amdhsa_exception_fp_ieee_overflow 0
		.amdhsa_exception_fp_ieee_underflow 0
		.amdhsa_exception_fp_ieee_inexact 0
		.amdhsa_exception_int_div_zero 0
	.end_amdhsa_kernel
	.text
.Lfunc_end3:
	.size	_Z12compute_fluxiPiPfS0_S0_S0_P6Float3S2_S2_S2_, .Lfunc_end3-_Z12compute_fluxiPiPfS0_S0_S0_P6Float3S2_S2_S2_
                                        ; -- End function
	.set _Z12compute_fluxiPiPfS0_S0_S0_P6Float3S2_S2_S2_.num_vgpr, 68
	.set _Z12compute_fluxiPiPfS0_S0_S0_P6Float3S2_S2_S2_.num_agpr, 0
	.set _Z12compute_fluxiPiPfS0_S0_S0_P6Float3S2_S2_S2_.numbered_sgpr, 46
	.set _Z12compute_fluxiPiPfS0_S0_S0_P6Float3S2_S2_S2_.num_named_barrier, 0
	.set _Z12compute_fluxiPiPfS0_S0_S0_P6Float3S2_S2_S2_.private_seg_size, 0
	.set _Z12compute_fluxiPiPfS0_S0_S0_P6Float3S2_S2_S2_.uses_vcc, 1
	.set _Z12compute_fluxiPiPfS0_S0_S0_P6Float3S2_S2_S2_.uses_flat_scratch, 0
	.set _Z12compute_fluxiPiPfS0_S0_S0_P6Float3S2_S2_S2_.has_dyn_sized_stack, 0
	.set _Z12compute_fluxiPiPfS0_S0_S0_P6Float3S2_S2_S2_.has_recursion, 0
	.set _Z12compute_fluxiPiPfS0_S0_S0_P6Float3S2_S2_S2_.has_indirect_call, 0
	.section	.AMDGPU.csdata,"",@progbits
; Kernel info:
; codeLenInByte = 8712
; TotalNumSgprs: 48
; NumVgprs: 68
; ScratchSize: 0
; MemoryBound: 0
; FloatMode: 240
; IeeeMode: 1
; LDSByteSize: 0 bytes/workgroup (compile time only)
; SGPRBlocks: 0
; VGPRBlocks: 4
; NumSGPRsForWavesPerEU: 48
; NumVGPRsForWavesPerEU: 68
; NamedBarCnt: 0
; Occupancy: 12
; WaveLimiterHint : 1
; COMPUTE_PGM_RSRC2:SCRATCH_EN: 0
; COMPUTE_PGM_RSRC2:USER_SGPR: 2
; COMPUTE_PGM_RSRC2:TRAP_HANDLER: 0
; COMPUTE_PGM_RSRC2:TGID_X_EN: 1
; COMPUTE_PGM_RSRC2:TGID_Y_EN: 0
; COMPUTE_PGM_RSRC2:TGID_Z_EN: 0
; COMPUTE_PGM_RSRC2:TIDIG_COMP_CNT: 0
	.text
	.protected	_Z9time_stepiiPKfPfS0_S0_ ; -- Begin function _Z9time_stepiiPKfPfS0_S0_
	.globl	_Z9time_stepiiPKfPfS0_S0_
	.p2align	8
	.type	_Z9time_stepiiPKfPfS0_S0_,@function
_Z9time_stepiiPKfPfS0_S0_:              ; @_Z9time_stepiiPKfPfS0_S0_
; %bb.0:
	s_clause 0x1
	s_load_b32 s4, s[0:1], 0x34
	s_load_b64 s[2:3], s[0:1], 0x0
	s_bfe_u32 s5, ttmp6, 0x4000c
	s_and_b32 s6, ttmp6, 15
	s_add_co_i32 s5, s5, 1
	s_getreg_b32 s7, hwreg(HW_REG_IB_STS2, 6, 4)
	s_mul_i32 s5, ttmp9, s5
	s_delay_alu instid0(SALU_CYCLE_1) | instskip(SKIP_4) | instid1(SALU_CYCLE_1)
	s_add_co_i32 s6, s6, s5
	s_wait_kmcnt 0x0
	s_and_b32 s4, s4, 0xffff
	s_cmp_eq_u32 s7, 0
	s_cselect_b32 s5, ttmp9, s6
	v_mad_u32 v0, s5, s4, v0
	s_mov_b32 s4, exec_lo
	s_delay_alu instid0(VALU_DEP_1)
	v_cmpx_gt_i32_e64 s3, v0
	s_cbranch_execz .LBB4_2
; %bb.1:
	s_load_b256 s[4:11], s[0:1], 0x8
	s_wait_xcnt 0x0
	s_sub_co_i32 s0, 4, s2
	s_wait_kmcnt 0x0
	s_clause 0x2
	global_load_b32 v8, v0, s[8:9] scale_offset
	global_load_b32 v12, v0, s[4:5] scale_offset
	;; [unrolled: 1-line block ×3, first 2 shown]
	s_cvt_f32_i32 s2, s0
	s_lshl_b32 s0, s3, 2
	s_wait_xcnt 0x2
	s_ashr_i32 s9, s3, 31
	s_ashr_i32 s1, s0, 31
	s_mov_b32 s8, s3
	s_lshl_b64 s[0:1], s[0:1], 2
	s_lshl_b64 s[8:9], s[8:9], 2
	s_wait_loadcnt 0x2
	v_div_scale_f32 v4, null, s2, s2, v8
	v_div_scale_f32 v6, vcc_lo, v8, s2, v8
	s_delay_alu instid0(VALU_DEP_2) | instskip(SKIP_1) | instid1(TRANS32_DEP_1)
	v_rcp_f32_e32 v5, v4
	v_nop
	v_fma_f32 v1, -v4, v5, 1.0
	s_delay_alu instid0(VALU_DEP_1) | instskip(NEXT) | instid1(VALU_DEP_1)
	v_dual_fmac_f32 v5, v1, v5 :: v_dual_ashrrev_i32 v1, 31, v0
	v_mul_f32_e32 v7, v6, v5
	s_delay_alu instid0(VALU_DEP_1) | instskip(NEXT) | instid1(VALU_DEP_1)
	v_fma_f32 v2, -v4, v7, v6
	v_fmac_f32_e32 v7, v2, v5
	s_delay_alu instid0(VALU_DEP_4) | instskip(NEXT) | instid1(VALU_DEP_2)
	v_lshlrev_b64_e32 v[2:3], 2, v[0:1]
	v_fma_f32 v1, -v4, v7, v6
	s_delay_alu instid0(VALU_DEP_1) | instskip(NEXT) | instid1(VALU_DEP_3)
	v_div_fmas_f32 v1, v1, v5, v7
	v_add_nc_u64_e32 v[4:5], s[4:5], v[2:3]
	v_add_nc_u64_e32 v[6:7], s[10:11], v[2:3]
	;; [unrolled: 1-line block ×3, first 2 shown]
	s_delay_alu instid0(VALU_DEP_4) | instskip(NEXT) | instid1(VALU_DEP_4)
	v_div_fixup_f32 v1, v1, s2, v8
	v_add_nc_u64_e32 v[8:9], s[0:1], v[4:5]
	s_delay_alu instid0(VALU_DEP_4) | instskip(SKIP_1) | instid1(VALU_DEP_3)
	v_add_nc_u64_e32 v[10:11], s[0:1], v[6:7]
	s_wait_loadcnt 0x0
	v_fmac_f32_e32 v12, v1, v13
	v_add_nc_u64_e32 v[4:5], s[8:9], v[4:5]
	v_add_nc_u64_e32 v[6:7], s[8:9], v[6:7]
	global_store_b32 v0, v12, s[6:7] scale_offset
	global_load_b32 v12, v[8:9], off
	global_load_b32 v13, v[10:11], off
	s_wait_xcnt 0x1
	v_add_nc_u64_e32 v[8:9], s[0:1], v[2:3]
	v_add_nc_u64_e32 v[2:3], s[8:9], v[2:3]
	v_add3_u32 v0, s3, s3, v0
	s_wait_loadcnt 0x0
	v_fmac_f32_e32 v12, v1, v13
	global_store_b32 v[8:9], v12, off
	global_load_b32 v8, v[4:5], off
	global_load_b32 v9, v[6:7], off
	s_wait_loadcnt 0x0
	v_fmac_f32_e32 v8, v1, v9
	global_store_b32 v[2:3], v8, off
	s_clause 0x1
	global_load_b32 v2, v0, s[4:5] scale_offset
	global_load_b32 v3, v0, s[10:11] scale_offset
	s_wait_loadcnt 0x0
	v_dual_fmac_f32 v2, v1, v3 :: v_dual_add_nc_u32 v3, s3, v0
	global_store_b32 v0, v2, s[6:7] scale_offset
	s_clause 0x1
	global_load_b32 v0, v3, s[4:5] scale_offset
	global_load_b32 v2, v3, s[10:11] scale_offset
	s_wait_loadcnt 0x0
	v_fmac_f32_e32 v0, v1, v2
	global_store_b32 v3, v0, s[6:7] scale_offset
.LBB4_2:
	s_endpgm
	.section	.rodata,"a",@progbits
	.p2align	6, 0x0
	.amdhsa_kernel _Z9time_stepiiPKfPfS0_S0_
		.amdhsa_group_segment_fixed_size 0
		.amdhsa_private_segment_fixed_size 0
		.amdhsa_kernarg_size 296
		.amdhsa_user_sgpr_count 2
		.amdhsa_user_sgpr_dispatch_ptr 0
		.amdhsa_user_sgpr_queue_ptr 0
		.amdhsa_user_sgpr_kernarg_segment_ptr 1
		.amdhsa_user_sgpr_dispatch_id 0
		.amdhsa_user_sgpr_kernarg_preload_length 0
		.amdhsa_user_sgpr_kernarg_preload_offset 0
		.amdhsa_user_sgpr_private_segment_size 0
		.amdhsa_wavefront_size32 1
		.amdhsa_uses_dynamic_stack 0
		.amdhsa_enable_private_segment 0
		.amdhsa_system_sgpr_workgroup_id_x 1
		.amdhsa_system_sgpr_workgroup_id_y 0
		.amdhsa_system_sgpr_workgroup_id_z 0
		.amdhsa_system_sgpr_workgroup_info 0
		.amdhsa_system_vgpr_workitem_id 0
		.amdhsa_next_free_vgpr 14
		.amdhsa_next_free_sgpr 12
		.amdhsa_named_barrier_count 0
		.amdhsa_reserve_vcc 1
		.amdhsa_float_round_mode_32 0
		.amdhsa_float_round_mode_16_64 0
		.amdhsa_float_denorm_mode_32 3
		.amdhsa_float_denorm_mode_16_64 3
		.amdhsa_fp16_overflow 0
		.amdhsa_memory_ordered 1
		.amdhsa_forward_progress 1
		.amdhsa_inst_pref_size 5
		.amdhsa_round_robin_scheduling 0
		.amdhsa_exception_fp_ieee_invalid_op 0
		.amdhsa_exception_fp_denorm_src 0
		.amdhsa_exception_fp_ieee_div_zero 0
		.amdhsa_exception_fp_ieee_overflow 0
		.amdhsa_exception_fp_ieee_underflow 0
		.amdhsa_exception_fp_ieee_inexact 0
		.amdhsa_exception_int_div_zero 0
	.end_amdhsa_kernel
	.text
.Lfunc_end4:
	.size	_Z9time_stepiiPKfPfS0_S0_, .Lfunc_end4-_Z9time_stepiiPKfPfS0_S0_
                                        ; -- End function
	.set _Z9time_stepiiPKfPfS0_S0_.num_vgpr, 14
	.set _Z9time_stepiiPKfPfS0_S0_.num_agpr, 0
	.set _Z9time_stepiiPKfPfS0_S0_.numbered_sgpr, 12
	.set _Z9time_stepiiPKfPfS0_S0_.num_named_barrier, 0
	.set _Z9time_stepiiPKfPfS0_S0_.private_seg_size, 0
	.set _Z9time_stepiiPKfPfS0_S0_.uses_vcc, 1
	.set _Z9time_stepiiPKfPfS0_S0_.uses_flat_scratch, 0
	.set _Z9time_stepiiPKfPfS0_S0_.has_dyn_sized_stack, 0
	.set _Z9time_stepiiPKfPfS0_S0_.has_recursion, 0
	.set _Z9time_stepiiPKfPfS0_S0_.has_indirect_call, 0
	.section	.AMDGPU.csdata,"",@progbits
; Kernel info:
; codeLenInByte = 572
; TotalNumSgprs: 14
; NumVgprs: 14
; ScratchSize: 0
; MemoryBound: 0
; FloatMode: 240
; IeeeMode: 1
; LDSByteSize: 0 bytes/workgroup (compile time only)
; SGPRBlocks: 0
; VGPRBlocks: 0
; NumSGPRsForWavesPerEU: 14
; NumVGPRsForWavesPerEU: 14
; NamedBarCnt: 0
; Occupancy: 16
; WaveLimiterHint : 0
; COMPUTE_PGM_RSRC2:SCRATCH_EN: 0
; COMPUTE_PGM_RSRC2:USER_SGPR: 2
; COMPUTE_PGM_RSRC2:TRAP_HANDLER: 0
; COMPUTE_PGM_RSRC2:TGID_X_EN: 1
; COMPUTE_PGM_RSRC2:TGID_Y_EN: 0
; COMPUTE_PGM_RSRC2:TGID_Z_EN: 0
; COMPUTE_PGM_RSRC2:TIDIG_COMP_CNT: 0
	.text
	.p2alignl 7, 3214868480
	.fill 96, 4, 3214868480
	.section	.AMDGPU.gpr_maximums,"",@progbits
	.set amdgpu.max_num_vgpr, 0
	.set amdgpu.max_num_agpr, 0
	.set amdgpu.max_num_sgpr, 0
	.text
	.type	__hip_cuid_16943568a36e0ed6,@object ; @__hip_cuid_16943568a36e0ed6
	.section	.bss,"aw",@nobits
	.globl	__hip_cuid_16943568a36e0ed6
__hip_cuid_16943568a36e0ed6:
	.byte	0                               ; 0x0
	.size	__hip_cuid_16943568a36e0ed6, 1

	.ident	"AMD clang version 22.0.0git (https://github.com/RadeonOpenCompute/llvm-project roc-7.2.4 26084 f58b06dce1f9c15707c5f808fd002e18c2accf7e)"
	.section	".note.GNU-stack","",@progbits
	.addrsig
	.addrsig_sym __hip_cuid_16943568a36e0ed6
	.amdgpu_metadata
---
amdhsa.kernels:
  - .args:
      - .address_space:  global
        .offset:         0
        .size:           8
        .value_kind:     global_buffer
      - .offset:         8
        .size:           4
        .value_kind:     by_value
      - .offset:         12
        .size:           4
        .value_kind:     by_value
      - .offset:         16
        .size:           4
        .value_kind:     hidden_block_count_x
      - .offset:         20
        .size:           4
        .value_kind:     hidden_block_count_y
      - .offset:         24
        .size:           4
        .value_kind:     hidden_block_count_z
      - .offset:         28
        .size:           2
        .value_kind:     hidden_group_size_x
      - .offset:         30
        .size:           2
        .value_kind:     hidden_group_size_y
      - .offset:         32
        .size:           2
        .value_kind:     hidden_group_size_z
      - .offset:         34
        .size:           2
        .value_kind:     hidden_remainder_x
      - .offset:         36
        .size:           2
        .value_kind:     hidden_remainder_y
      - .offset:         38
        .size:           2
        .value_kind:     hidden_remainder_z
      - .offset:         56
        .size:           8
        .value_kind:     hidden_global_offset_x
      - .offset:         64
        .size:           8
        .value_kind:     hidden_global_offset_y
      - .offset:         72
        .size:           8
        .value_kind:     hidden_global_offset_z
      - .offset:         80
        .size:           2
        .value_kind:     hidden_grid_dims
    .group_segment_fixed_size: 0
    .kernarg_segment_align: 8
    .kernarg_segment_size: 272
    .language:       OpenCL C
    .language_version:
      - 2
      - 0
    .max_flat_workgroup_size: 1024
    .name:           _Z17initialize_bufferPffi
    .private_segment_fixed_size: 0
    .sgpr_count:     10
    .sgpr_spill_count: 0
    .symbol:         _Z17initialize_bufferPffi.kd
    .uniform_work_group_size: 1
    .uses_dynamic_stack: false
    .vgpr_count:     2
    .vgpr_spill_count: 0
    .wavefront_size: 32
  - .args:
      - .offset:         0
        .size:           4
        .value_kind:     by_value
      - .address_space:  global
        .offset:         8
        .size:           8
        .value_kind:     global_buffer
      - .address_space:  global
        .offset:         16
        .size:           8
        .value_kind:     global_buffer
      - .offset:         24
        .size:           4
        .value_kind:     hidden_block_count_x
      - .offset:         28
        .size:           4
        .value_kind:     hidden_block_count_y
      - .offset:         32
        .size:           4
        .value_kind:     hidden_block_count_z
      - .offset:         36
        .size:           2
        .value_kind:     hidden_group_size_x
      - .offset:         38
        .size:           2
        .value_kind:     hidden_group_size_y
      - .offset:         40
        .size:           2
        .value_kind:     hidden_group_size_z
      - .offset:         42
        .size:           2
        .value_kind:     hidden_remainder_x
      - .offset:         44
        .size:           2
        .value_kind:     hidden_remainder_y
      - .offset:         46
        .size:           2
        .value_kind:     hidden_remainder_z
      - .offset:         64
        .size:           8
        .value_kind:     hidden_global_offset_x
      - .offset:         72
        .size:           8
        .value_kind:     hidden_global_offset_y
      - .offset:         80
        .size:           8
        .value_kind:     hidden_global_offset_z
      - .offset:         88
        .size:           2
        .value_kind:     hidden_grid_dims
    .group_segment_fixed_size: 0
    .kernarg_segment_align: 8
    .kernarg_segment_size: 280
    .language:       OpenCL C
    .language_version:
      - 2
      - 0
    .max_flat_workgroup_size: 1024
    .name:           _Z20initialize_variablesiPfPKf
    .private_segment_fixed_size: 0
    .sgpr_count:     11
    .sgpr_spill_count: 0
    .symbol:         _Z20initialize_variablesiPfPKf.kd
    .uniform_work_group_size: 1
    .uses_dynamic_stack: false
    .vgpr_count:     6
    .vgpr_spill_count: 0
    .wavefront_size: 32
  - .args:
      - .offset:         0
        .size:           4
        .value_kind:     by_value
      - .address_space:  global
        .offset:         8
        .size:           8
        .value_kind:     global_buffer
      - .address_space:  global
        .offset:         16
        .size:           8
        .value_kind:     global_buffer
      - .address_space:  global
        .offset:         24
        .size:           8
        .value_kind:     global_buffer
      - .offset:         32
        .size:           4
        .value_kind:     hidden_block_count_x
      - .offset:         36
        .size:           4
        .value_kind:     hidden_block_count_y
      - .offset:         40
        .size:           4
        .value_kind:     hidden_block_count_z
      - .offset:         44
        .size:           2
        .value_kind:     hidden_group_size_x
      - .offset:         46
        .size:           2
        .value_kind:     hidden_group_size_y
      - .offset:         48
        .size:           2
        .value_kind:     hidden_group_size_z
      - .offset:         50
        .size:           2
        .value_kind:     hidden_remainder_x
      - .offset:         52
        .size:           2
        .value_kind:     hidden_remainder_y
      - .offset:         54
        .size:           2
        .value_kind:     hidden_remainder_z
      - .offset:         72
        .size:           8
        .value_kind:     hidden_global_offset_x
      - .offset:         80
        .size:           8
        .value_kind:     hidden_global_offset_y
      - .offset:         88
        .size:           8
        .value_kind:     hidden_global_offset_z
      - .offset:         96
        .size:           2
        .value_kind:     hidden_grid_dims
    .group_segment_fixed_size: 0
    .kernarg_segment_align: 8
    .kernarg_segment_size: 288
    .language:       OpenCL C
    .language_version:
      - 2
      - 0
    .max_flat_workgroup_size: 1024
    .name:           _Z19compute_step_factoriPfS_S_
    .private_segment_fixed_size: 0
    .sgpr_count:     12
    .sgpr_spill_count: 0
    .symbol:         _Z19compute_step_factoriPfS_S_.kd
    .uniform_work_group_size: 1
    .uses_dynamic_stack: false
    .vgpr_count:     22
    .vgpr_spill_count: 0
    .wavefront_size: 32
  - .args:
      - .offset:         0
        .size:           4
        .value_kind:     by_value
      - .address_space:  global
        .offset:         8
        .size:           8
        .value_kind:     global_buffer
      - .address_space:  global
        .offset:         16
        .size:           8
        .value_kind:     global_buffer
      - .address_space:  global
        .offset:         24
        .size:           8
        .value_kind:     global_buffer
      - .address_space:  global
        .offset:         32
        .size:           8
        .value_kind:     global_buffer
      - .address_space:  global
        .offset:         40
        .size:           8
        .value_kind:     global_buffer
      - .address_space:  global
        .offset:         48
        .size:           8
        .value_kind:     global_buffer
      - .address_space:  global
        .offset:         56
        .size:           8
        .value_kind:     global_buffer
      - .address_space:  global
        .offset:         64
        .size:           8
        .value_kind:     global_buffer
      - .address_space:  global
        .offset:         72
        .size:           8
        .value_kind:     global_buffer
      - .offset:         80
        .size:           4
        .value_kind:     hidden_block_count_x
      - .offset:         84
        .size:           4
        .value_kind:     hidden_block_count_y
      - .offset:         88
        .size:           4
        .value_kind:     hidden_block_count_z
      - .offset:         92
        .size:           2
        .value_kind:     hidden_group_size_x
      - .offset:         94
        .size:           2
        .value_kind:     hidden_group_size_y
      - .offset:         96
        .size:           2
        .value_kind:     hidden_group_size_z
      - .offset:         98
        .size:           2
        .value_kind:     hidden_remainder_x
      - .offset:         100
        .size:           2
        .value_kind:     hidden_remainder_y
      - .offset:         102
        .size:           2
        .value_kind:     hidden_remainder_z
      - .offset:         120
        .size:           8
        .value_kind:     hidden_global_offset_x
      - .offset:         128
        .size:           8
        .value_kind:     hidden_global_offset_y
      - .offset:         136
        .size:           8
        .value_kind:     hidden_global_offset_z
      - .offset:         144
        .size:           2
        .value_kind:     hidden_grid_dims
    .group_segment_fixed_size: 0
    .kernarg_segment_align: 8
    .kernarg_segment_size: 336
    .language:       OpenCL C
    .language_version:
      - 2
      - 0
    .max_flat_workgroup_size: 1024
    .name:           _Z12compute_fluxiPiPfS0_S0_S0_P6Float3S2_S2_S2_
    .private_segment_fixed_size: 0
    .sgpr_count:     48
    .sgpr_spill_count: 0
    .symbol:         _Z12compute_fluxiPiPfS0_S0_S0_P6Float3S2_S2_S2_.kd
    .uniform_work_group_size: 1
    .uses_dynamic_stack: false
    .vgpr_count:     68
    .vgpr_spill_count: 0
    .wavefront_size: 32
  - .args:
      - .offset:         0
        .size:           4
        .value_kind:     by_value
      - .offset:         4
        .size:           4
        .value_kind:     by_value
      - .address_space:  global
        .offset:         8
        .size:           8
        .value_kind:     global_buffer
      - .address_space:  global
        .offset:         16
        .size:           8
        .value_kind:     global_buffer
      - .address_space:  global
        .offset:         24
        .size:           8
        .value_kind:     global_buffer
      - .address_space:  global
        .offset:         32
        .size:           8
        .value_kind:     global_buffer
      - .offset:         40
        .size:           4
        .value_kind:     hidden_block_count_x
      - .offset:         44
        .size:           4
        .value_kind:     hidden_block_count_y
      - .offset:         48
        .size:           4
        .value_kind:     hidden_block_count_z
      - .offset:         52
        .size:           2
        .value_kind:     hidden_group_size_x
      - .offset:         54
        .size:           2
        .value_kind:     hidden_group_size_y
      - .offset:         56
        .size:           2
        .value_kind:     hidden_group_size_z
      - .offset:         58
        .size:           2
        .value_kind:     hidden_remainder_x
      - .offset:         60
        .size:           2
        .value_kind:     hidden_remainder_y
      - .offset:         62
        .size:           2
        .value_kind:     hidden_remainder_z
      - .offset:         80
        .size:           8
        .value_kind:     hidden_global_offset_x
      - .offset:         88
        .size:           8
        .value_kind:     hidden_global_offset_y
      - .offset:         96
        .size:           8
        .value_kind:     hidden_global_offset_z
      - .offset:         104
        .size:           2
        .value_kind:     hidden_grid_dims
    .group_segment_fixed_size: 0
    .kernarg_segment_align: 8
    .kernarg_segment_size: 296
    .language:       OpenCL C
    .language_version:
      - 2
      - 0
    .max_flat_workgroup_size: 1024
    .name:           _Z9time_stepiiPKfPfS0_S0_
    .private_segment_fixed_size: 0
    .sgpr_count:     14
    .sgpr_spill_count: 0
    .symbol:         _Z9time_stepiiPKfPfS0_S0_.kd
    .uniform_work_group_size: 1
    .uses_dynamic_stack: false
    .vgpr_count:     14
    .vgpr_spill_count: 0
    .wavefront_size: 32
amdhsa.target:   amdgcn-amd-amdhsa--gfx1250
amdhsa.version:
  - 1
  - 2
...

	.end_amdgpu_metadata
